;; amdgpu-corpus repo=ROCm/rocFFT kind=compiled arch=gfx1030 opt=O3
	.text
	.amdgcn_target "amdgcn-amd-amdhsa--gfx1030"
	.amdhsa_code_object_version 6
	.protected	fft_rtc_fwd_len1088_factors_17_4_4_2_2_wgs_204_tpt_68_halfLds_dp_ip_CI_unitstride_sbrr_dirReg ; -- Begin function fft_rtc_fwd_len1088_factors_17_4_4_2_2_wgs_204_tpt_68_halfLds_dp_ip_CI_unitstride_sbrr_dirReg
	.globl	fft_rtc_fwd_len1088_factors_17_4_4_2_2_wgs_204_tpt_68_halfLds_dp_ip_CI_unitstride_sbrr_dirReg
	.p2align	8
	.type	fft_rtc_fwd_len1088_factors_17_4_4_2_2_wgs_204_tpt_68_halfLds_dp_ip_CI_unitstride_sbrr_dirReg,@function
fft_rtc_fwd_len1088_factors_17_4_4_2_2_wgs_204_tpt_68_halfLds_dp_ip_CI_unitstride_sbrr_dirReg: ; @fft_rtc_fwd_len1088_factors_17_4_4_2_2_wgs_204_tpt_68_halfLds_dp_ip_CI_unitstride_sbrr_dirReg
; %bb.0:
	s_load_dwordx4 s[8:11], s[4:5], 0x0
	v_mul_u32_u24_e32 v1, 0x3c4, v0
	s_clause 0x1
	s_load_dwordx2 s[2:3], s[4:5], 0x50
	s_load_dwordx2 s[12:13], s[4:5], 0x18
	v_mov_b32_e32 v3, 0
	v_lshrrev_b32_e32 v1, 16, v1
	v_mad_u64_u32 v[68:69], null, s6, 3, v[1:2]
	v_mov_b32_e32 v69, v3
	v_mov_b32_e32 v1, 0
	;; [unrolled: 1-line block ×4, first 2 shown]
	s_waitcnt lgkmcnt(0)
	v_cmp_lt_u64_e64 s0, s[10:11], 2
	v_mov_b32_e32 v8, v69
	s_and_b32 vcc_lo, exec_lo, s0
	s_cbranch_vccnz .LBB0_8
; %bb.1:
	s_load_dwordx2 s[0:1], s[4:5], 0x10
	v_mov_b32_e32 v1, 0
	v_mov_b32_e32 v5, v68
	s_add_u32 s6, s12, 8
	v_mov_b32_e32 v2, 0
	v_mov_b32_e32 v6, v69
	s_addc_u32 s7, s13, 0
	s_mov_b64 s[16:17], 1
	s_waitcnt lgkmcnt(0)
	s_add_u32 s14, s0, 8
	s_addc_u32 s15, s1, 0
.LBB0_2:                                ; =>This Inner Loop Header: Depth=1
	s_load_dwordx2 s[18:19], s[14:15], 0x0
                                        ; implicit-def: $vgpr7_vgpr8
	s_mov_b32 s0, exec_lo
	s_waitcnt lgkmcnt(0)
	v_or_b32_e32 v4, s19, v6
	v_cmpx_ne_u64_e32 0, v[3:4]
	s_xor_b32 s1, exec_lo, s0
	s_cbranch_execz .LBB0_4
; %bb.3:                                ;   in Loop: Header=BB0_2 Depth=1
	v_cvt_f32_u32_e32 v4, s18
	v_cvt_f32_u32_e32 v7, s19
	s_sub_u32 s0, 0, s18
	s_subb_u32 s20, 0, s19
	v_fmac_f32_e32 v4, 0x4f800000, v7
	v_rcp_f32_e32 v4, v4
	v_mul_f32_e32 v4, 0x5f7ffffc, v4
	v_mul_f32_e32 v7, 0x2f800000, v4
	v_trunc_f32_e32 v7, v7
	v_fmac_f32_e32 v4, 0xcf800000, v7
	v_cvt_u32_f32_e32 v7, v7
	v_cvt_u32_f32_e32 v4, v4
	v_mul_lo_u32 v8, s0, v7
	v_mul_hi_u32 v9, s0, v4
	v_mul_lo_u32 v10, s20, v4
	v_add_nc_u32_e32 v8, v9, v8
	v_mul_lo_u32 v9, s0, v4
	v_add_nc_u32_e32 v8, v8, v10
	v_mul_hi_u32 v10, v4, v9
	v_mul_lo_u32 v11, v4, v8
	v_mul_hi_u32 v12, v4, v8
	v_mul_hi_u32 v13, v7, v9
	v_mul_lo_u32 v9, v7, v9
	v_mul_hi_u32 v14, v7, v8
	v_mul_lo_u32 v8, v7, v8
	v_add_co_u32 v10, vcc_lo, v10, v11
	v_add_co_ci_u32_e32 v11, vcc_lo, 0, v12, vcc_lo
	v_add_co_u32 v9, vcc_lo, v10, v9
	v_add_co_ci_u32_e32 v9, vcc_lo, v11, v13, vcc_lo
	v_add_co_ci_u32_e32 v10, vcc_lo, 0, v14, vcc_lo
	v_add_co_u32 v8, vcc_lo, v9, v8
	v_add_co_ci_u32_e32 v9, vcc_lo, 0, v10, vcc_lo
	v_add_co_u32 v4, vcc_lo, v4, v8
	v_add_co_ci_u32_e32 v7, vcc_lo, v7, v9, vcc_lo
	v_mul_hi_u32 v8, s0, v4
	v_mul_lo_u32 v10, s20, v4
	v_mul_lo_u32 v9, s0, v7
	v_add_nc_u32_e32 v8, v8, v9
	v_mul_lo_u32 v9, s0, v4
	v_add_nc_u32_e32 v8, v8, v10
	v_mul_hi_u32 v10, v4, v9
	v_mul_lo_u32 v11, v4, v8
	v_mul_hi_u32 v12, v4, v8
	v_mul_hi_u32 v13, v7, v9
	v_mul_lo_u32 v9, v7, v9
	v_mul_hi_u32 v14, v7, v8
	v_mul_lo_u32 v8, v7, v8
	v_add_co_u32 v10, vcc_lo, v10, v11
	v_add_co_ci_u32_e32 v11, vcc_lo, 0, v12, vcc_lo
	v_add_co_u32 v9, vcc_lo, v10, v9
	v_add_co_ci_u32_e32 v9, vcc_lo, v11, v13, vcc_lo
	v_add_co_ci_u32_e32 v10, vcc_lo, 0, v14, vcc_lo
	v_add_co_u32 v8, vcc_lo, v9, v8
	v_add_co_ci_u32_e32 v9, vcc_lo, 0, v10, vcc_lo
	v_add_co_u32 v4, vcc_lo, v4, v8
	v_add_co_ci_u32_e32 v11, vcc_lo, v7, v9, vcc_lo
	v_mul_hi_u32 v13, v5, v4
	v_mad_u64_u32 v[9:10], null, v6, v4, 0
	v_mad_u64_u32 v[7:8], null, v5, v11, 0
	v_mad_u64_u32 v[11:12], null, v6, v11, 0
	v_add_co_u32 v4, vcc_lo, v13, v7
	v_add_co_ci_u32_e32 v7, vcc_lo, 0, v8, vcc_lo
	v_add_co_u32 v4, vcc_lo, v4, v9
	v_add_co_ci_u32_e32 v4, vcc_lo, v7, v10, vcc_lo
	v_add_co_ci_u32_e32 v7, vcc_lo, 0, v12, vcc_lo
	v_add_co_u32 v4, vcc_lo, v4, v11
	v_add_co_ci_u32_e32 v9, vcc_lo, 0, v7, vcc_lo
	v_mul_lo_u32 v10, s19, v4
	v_mad_u64_u32 v[7:8], null, s18, v4, 0
	v_mul_lo_u32 v11, s18, v9
	v_sub_co_u32 v7, vcc_lo, v5, v7
	v_add3_u32 v8, v8, v11, v10
	v_sub_nc_u32_e32 v10, v6, v8
	v_subrev_co_ci_u32_e64 v10, s0, s19, v10, vcc_lo
	v_add_co_u32 v11, s0, v4, 2
	v_add_co_ci_u32_e64 v12, s0, 0, v9, s0
	v_sub_co_u32 v13, s0, v7, s18
	v_sub_co_ci_u32_e32 v8, vcc_lo, v6, v8, vcc_lo
	v_subrev_co_ci_u32_e64 v10, s0, 0, v10, s0
	v_cmp_le_u32_e32 vcc_lo, s18, v13
	v_cmp_eq_u32_e64 s0, s19, v8
	v_cndmask_b32_e64 v13, 0, -1, vcc_lo
	v_cmp_le_u32_e32 vcc_lo, s19, v10
	v_cndmask_b32_e64 v14, 0, -1, vcc_lo
	v_cmp_le_u32_e32 vcc_lo, s18, v7
	;; [unrolled: 2-line block ×3, first 2 shown]
	v_cndmask_b32_e64 v15, 0, -1, vcc_lo
	v_cmp_eq_u32_e32 vcc_lo, s19, v10
	v_cndmask_b32_e64 v7, v15, v7, s0
	v_cndmask_b32_e32 v10, v14, v13, vcc_lo
	v_add_co_u32 v13, vcc_lo, v4, 1
	v_add_co_ci_u32_e32 v14, vcc_lo, 0, v9, vcc_lo
	v_cmp_ne_u32_e32 vcc_lo, 0, v10
	v_cndmask_b32_e32 v8, v14, v12, vcc_lo
	v_cndmask_b32_e32 v10, v13, v11, vcc_lo
	v_cmp_ne_u32_e32 vcc_lo, 0, v7
	v_cndmask_b32_e32 v8, v9, v8, vcc_lo
	v_cndmask_b32_e32 v7, v4, v10, vcc_lo
.LBB0_4:                                ;   in Loop: Header=BB0_2 Depth=1
	s_andn2_saveexec_b32 s0, s1
	s_cbranch_execz .LBB0_6
; %bb.5:                                ;   in Loop: Header=BB0_2 Depth=1
	v_cvt_f32_u32_e32 v4, s18
	s_sub_i32 s1, 0, s18
	v_rcp_iflag_f32_e32 v4, v4
	v_mul_f32_e32 v4, 0x4f7ffffe, v4
	v_cvt_u32_f32_e32 v4, v4
	v_mul_lo_u32 v7, s1, v4
	v_mul_hi_u32 v7, v4, v7
	v_add_nc_u32_e32 v4, v4, v7
	v_mul_hi_u32 v4, v5, v4
	v_mul_lo_u32 v7, v4, s18
	v_add_nc_u32_e32 v8, 1, v4
	v_sub_nc_u32_e32 v7, v5, v7
	v_subrev_nc_u32_e32 v9, s18, v7
	v_cmp_le_u32_e32 vcc_lo, s18, v7
	v_cndmask_b32_e32 v7, v7, v9, vcc_lo
	v_cndmask_b32_e32 v4, v4, v8, vcc_lo
	v_cmp_le_u32_e32 vcc_lo, s18, v7
	v_add_nc_u32_e32 v8, 1, v4
	v_cndmask_b32_e32 v7, v4, v8, vcc_lo
	v_mov_b32_e32 v8, v3
.LBB0_6:                                ;   in Loop: Header=BB0_2 Depth=1
	s_or_b32 exec_lo, exec_lo, s0
	s_load_dwordx2 s[0:1], s[6:7], 0x0
	v_mul_lo_u32 v4, v8, s18
	v_mul_lo_u32 v11, v7, s19
	v_mad_u64_u32 v[9:10], null, v7, s18, 0
	s_add_u32 s16, s16, 1
	s_addc_u32 s17, s17, 0
	s_add_u32 s6, s6, 8
	s_addc_u32 s7, s7, 0
	;; [unrolled: 2-line block ×3, first 2 shown]
	v_add3_u32 v4, v10, v11, v4
	v_sub_co_u32 v5, vcc_lo, v5, v9
	v_sub_co_ci_u32_e32 v4, vcc_lo, v6, v4, vcc_lo
	s_waitcnt lgkmcnt(0)
	v_mul_lo_u32 v6, s1, v5
	v_mul_lo_u32 v4, s0, v4
	v_mad_u64_u32 v[1:2], null, s0, v5, v[1:2]
	v_cmp_ge_u64_e64 s0, s[16:17], s[10:11]
	s_and_b32 vcc_lo, exec_lo, s0
	v_add3_u32 v2, v6, v2, v4
	s_cbranch_vccnz .LBB0_8
; %bb.7:                                ;   in Loop: Header=BB0_2 Depth=1
	v_mov_b32_e32 v5, v7
	v_mov_b32_e32 v6, v8
	s_branch .LBB0_2
.LBB0_8:
	s_lshl_b64 s[0:1], s[10:11], 3
	v_mul_hi_u32 v3, 0x3c3c3c4, v0
	s_add_u32 s0, s12, s0
	s_addc_u32 s1, s13, s1
                                        ; implicit-def: $vgpr10_vgpr11
                                        ; implicit-def: $vgpr18_vgpr19
                                        ; implicit-def: $vgpr22_vgpr23
                                        ; implicit-def: $vgpr50_vgpr51
                                        ; implicit-def: $vgpr54_vgpr55
                                        ; implicit-def: $vgpr46_vgpr47
                                        ; implicit-def: $vgpr42_vgpr43
                                        ; implicit-def: $vgpr34_vgpr35
                                        ; implicit-def: $vgpr38_vgpr39
                                        ; implicit-def: $vgpr58_vgpr59
                                        ; implicit-def: $vgpr62_vgpr63
                                        ; implicit-def: $vgpr66_vgpr67
                                        ; implicit-def: $vgpr30_vgpr31
                                        ; implicit-def: $vgpr26_vgpr27
                                        ; implicit-def: $vgpr14_vgpr15
	s_load_dwordx2 s[0:1], s[0:1], 0x0
	s_load_dwordx2 s[4:5], s[4:5], 0x20
	v_mul_u32_u24_e32 v3, 0x44, v3
	v_sub_nc_u32_e32 v96, v0, v3
	s_waitcnt lgkmcnt(0)
	v_mul_lo_u32 v4, s0, v8
	v_mul_lo_u32 v5, s1, v7
	v_mad_u64_u32 v[1:2], null, s0, v7, v[1:2]
	v_cmp_gt_u64_e32 vcc_lo, s[4:5], v[7:8]
	v_cmp_gt_u32_e64 s0, 64, v96
                                        ; implicit-def: $vgpr6_vgpr7
	s_and_b32 s1, vcc_lo, s0
	v_add3_u32 v2, v5, v2, v4
	v_lshlrev_b64 v[98:99], 4, v[1:2]
                                        ; implicit-def: $vgpr2_vgpr3
	s_and_saveexec_b32 s4, s1
	s_cbranch_execz .LBB0_10
; %bb.9:
	v_mov_b32_e32 v97, 0
	v_or_b32_e32 v0, 0x80, v96
	v_add_co_u32 v50, s1, s2, v98
	v_add_co_ci_u32_e64 v51, s1, s3, v99, s1
	v_lshlrev_b64 v[2:3], 4, v[96:97]
	v_mov_b32_e32 v1, v97
	v_or_b32_e32 v4, 0xc0, v96
	v_mov_b32_e32 v5, v97
	v_or_b32_e32 v14, 0x100, v96
	v_mov_b32_e32 v15, v97
	v_lshlrev_b64 v[0:1], 4, v[0:1]
	v_add_co_u32 v6, s1, v50, v2
	v_add_co_ci_u32_e64 v7, s1, v51, v3, s1
	v_lshlrev_b64 v[2:3], 4, v[4:5]
	v_or_b32_e32 v16, 0x140, v96
	v_mov_b32_e32 v17, v97
	v_add_co_u32 v4, s1, v50, v0
	v_lshlrev_b64 v[18:19], 4, v[14:15]
	v_or_b32_e32 v20, 0x180, v96
	v_mov_b32_e32 v21, v97
	v_add_co_ci_u32_e64 v5, s1, v51, v1, s1
	v_add_co_u32 v12, s1, v50, v2
	v_lshlrev_b64 v[16:17], 4, v[16:17]
	v_or_b32_e32 v22, 0x1c0, v96
	v_mov_b32_e32 v23, v97
	v_add_co_ci_u32_e64 v13, s1, v51, v3, s1
	v_add_co_u32 v18, s1, v50, v18
	v_lshlrev_b64 v[20:21], 4, v[20:21]
	v_add_co_ci_u32_e64 v19, s1, v51, v19, s1
	v_add_co_u32 v16, s1, v50, v16
	v_lshlrev_b64 v[22:23], 4, v[22:23]
	v_add_co_ci_u32_e64 v17, s1, v51, v17, s1
	v_add_co_u32 v20, s1, v50, v20
	v_add_co_ci_u32_e64 v21, s1, v51, v21, s1
	v_add_co_u32 v28, s1, v50, v22
	v_add_co_ci_u32_e64 v29, s1, v51, v23, s1
	v_or_b32_e32 v22, 0x200, v96
	v_mov_b32_e32 v23, v97
	v_or_b32_e32 v32, 0x240, v96
	v_mov_b32_e32 v33, v97
	;; [unrolled: 2-line block ×3, first 2 shown]
	v_lshlrev_b64 v[34:35], 4, v[22:23]
	v_or_b32_e32 v38, 0x2c0, v96
	v_lshlrev_b64 v[32:33], 4, v[32:33]
	v_mov_b32_e32 v39, v97
	v_lshlrev_b64 v[36:37], 4, v[36:37]
	v_or_b32_e32 v40, 0x300, v96
	v_add_co_u32 v34, s1, v50, v34
	v_mov_b32_e32 v41, v97
	v_add_co_ci_u32_e64 v35, s1, v51, v35, s1
	v_add_co_u32 v32, s1, v50, v32
	v_lshlrev_b64 v[38:39], 4, v[38:39]
	v_or_b32_e32 v42, 0x340, v96
	v_mov_b32_e32 v43, v97
	v_add_co_ci_u32_e64 v33, s1, v51, v33, s1
	v_add_co_u32 v36, s1, v50, v36
	v_lshlrev_b64 v[40:41], 4, v[40:41]
	v_or_b32_e32 v44, 0x380, v96
	v_mov_b32_e32 v45, v97
	v_add_co_ci_u32_e64 v37, s1, v51, v37, s1
	v_add_co_u32 v38, s1, v50, v38
	v_lshlrev_b64 v[42:43], 4, v[42:43]
	v_add_co_ci_u32_e64 v39, s1, v51, v39, s1
	v_add_co_u32 v40, s1, v50, v40
	v_lshlrev_b64 v[44:45], 4, v[44:45]
	v_or_b32_e32 v46, 0x3c0, v96
	v_mov_b32_e32 v47, v97
	v_add_co_ci_u32_e64 v41, s1, v51, v41, s1
	v_add_co_u32 v42, s1, v50, v42
	v_or_b32_e32 v48, 0x400, v96
	v_mov_b32_e32 v49, v97
	v_add_co_ci_u32_e64 v43, s1, v51, v43, s1
	v_lshlrev_b64 v[46:47], 4, v[46:47]
	v_add_co_u32 v69, s1, v50, v44
	v_add_co_ci_u32_e64 v70, s1, v51, v45, s1
	v_lshlrev_b64 v[44:45], 4, v[48:49]
	v_add_co_u32 v71, s1, v50, v46
	v_add_co_ci_u32_e64 v72, s1, v51, v47, s1
	s_clause 0x1
	global_load_dwordx4 v[0:3], v[6:7], off
	global_load_dwordx4 v[8:11], v[6:7], off offset:1024
	v_add_co_u32 v73, s1, v50, v44
	s_clause 0x5
	global_load_dwordx4 v[4:7], v[4:5], off
	global_load_dwordx4 v[12:15], v[12:13], off
	;; [unrolled: 1-line block ×6, first 2 shown]
	v_add_co_ci_u32_e64 v74, s1, v51, v45, s1
	s_clause 0x8
	global_load_dwordx4 v[64:67], v[34:35], off
	global_load_dwordx4 v[48:51], v[32:33], off
	;; [unrolled: 1-line block ×9, first 2 shown]
.LBB0_10:
	s_or_b32 exec_lo, exec_lo, s4
	v_mul_hi_u32 v69, 0xaaaaaaab, v68
	v_lshrrev_b32_e32 v69, 1, v69
	v_lshl_add_u32 v69, v69, 1, v69
	v_sub_nc_u32_e32 v68, v68, v69
	v_mul_u32_u24_e32 v68, 0x440, v68
	v_lshlrev_b32_e32 v110, 3, v68
	s_and_saveexec_b32 s1, s0
	s_cbranch_execz .LBB0_12
; %bb.11:
	s_waitcnt vmcnt(0)
	v_add_f64 v[68:69], v[10:11], -v[34:35]
	s_mov_b32 s10, 0x7c9e640b
	s_mov_b32 s11, 0x3feca52d
	;; [unrolled: 1-line block ×4, first 2 shown]
	v_add_f64 v[70:71], v[8:9], v[32:33]
	v_add_f64 v[76:77], v[6:7], -v[38:39]
	s_mov_b32 s6, 0x2b2883cd
	s_mov_b32 s12, 0x6c9a05f6
	;; [unrolled: 1-line block ×8, first 2 shown]
	v_add_f64 v[72:73], v[4:5], v[36:37]
	s_mov_b32 s4, 0x6ed5f1bb
	s_mov_b32 s20, 0xeb564b22
	;; [unrolled: 1-line block ×6, first 2 shown]
	v_mul_f64 v[74:75], v[68:69], s[16:17]
	v_mul_f64 v[80:81], v[68:69], s[30:31]
	s_mov_b32 s21, 0x3fefdd0d
	s_mov_b32 s19, 0x3fe7a5f6
	;; [unrolled: 1-line block ×4, first 2 shown]
	v_mul_f64 v[94:95], v[76:77], s[12:13]
	s_mov_b32 s28, s20
	s_mov_b32 s35, 0xbfe0d888
	v_add_f64 v[82:83], v[14:15], -v[42:43]
	v_mul_f64 v[84:85], v[68:69], s[26:27]
	v_mul_f64 v[86:87], v[68:69], s[28:29]
	;; [unrolled: 1-line block ×5, first 2 shown]
	v_add_f64 v[131:132], v[8:9], v[0:1]
	s_mov_b32 s14, 0x3259b75e
	s_mov_b32 s22, 0xacd6c6b4
	;; [unrolled: 1-line block ×6, first 2 shown]
	v_fma_f64 v[111:112], v[70:71], s[6:7], -v[74:75]
	v_fma_f64 v[113:114], v[70:71], s[18:19], -v[80:81]
	s_mov_b32 s45, 0x3fc7851a
	s_mov_b32 s37, 0xbfd183b1
	;; [unrolled: 1-line block ×4, first 2 shown]
	v_fma_f64 v[125:126], v[72:73], s[4:5], -v[94:95]
	s_mov_b32 s39, 0xbfeb34fa
	s_mov_b32 s44, s22
	;; [unrolled: 1-line block ×4, first 2 shown]
	v_add_f64 v[78:79], v[40:41], v[12:13]
	v_mul_f64 v[102:103], v[76:77], s[42:43]
	v_fma_f64 v[115:116], v[70:71], s[36:37], -v[84:85]
	v_mul_f64 v[90:91], v[82:83], s[44:45]
	v_mul_f64 v[104:105], v[76:77], s[22:23]
	;; [unrolled: 1-line block ×3, first 2 shown]
	v_fma_f64 v[119:120], v[70:71], s[14:15], -v[86:87]
	v_fma_f64 v[121:122], v[70:71], s[38:39], -v[106:107]
	v_mul_f64 v[123:124], v[76:77], s[40:41]
	v_fma_f64 v[127:128], v[70:71], s[4:5], -v[108:109]
	v_fma_f64 v[129:130], v[72:73], s[14:15], -v[100:101]
	v_add_f64 v[111:112], v[111:112], v[0:1]
	v_add_f64 v[113:114], v[113:114], v[0:1]
	s_mov_b32 s44, 0x7faef3
	s_mov_b32 s48, 0x5d8e7cdc
	;; [unrolled: 1-line block ×6, first 2 shown]
	v_add_f64 v[92:93], v[26:27], -v[46:47]
	v_mul_f64 v[135:136], v[82:83], s[24:25]
	v_mul_f64 v[141:142], v[82:83], s[40:41]
	;; [unrolled: 1-line block ×3, first 2 shown]
	v_fma_f64 v[137:138], v[72:73], s[38:39], -v[102:103]
	v_add_f64 v[115:116], v[115:116], v[0:1]
	v_fma_f64 v[147:148], v[78:79], s[44:45], -v[90:91]
	v_fma_f64 v[143:144], v[72:73], s[44:45], -v[104:105]
	;; [unrolled: 1-line block ×3, first 2 shown]
	v_add_f64 v[119:120], v[119:120], v[0:1]
	v_add_f64 v[121:122], v[121:122], v[0:1]
	v_fma_f64 v[153:154], v[72:73], s[36:37], -v[123:124]
	v_add_f64 v[127:128], v[127:128], v[0:1]
	v_mul_f64 v[88:89], v[82:83], s[12:13]
	v_add_f64 v[111:112], v[125:126], v[111:112]
	v_add_f64 v[125:126], v[4:5], v[131:132]
	;; [unrolled: 1-line block ×3, first 2 shown]
	v_mul_f64 v[129:130], v[82:83], s[50:51]
	s_mov_b32 s46, 0x370991
	s_mov_b32 s53, 0x3fe9895b
	;; [unrolled: 1-line block ×4, first 2 shown]
	v_add_f64 v[133:134], v[44:45], v[24:25]
	v_add_f64 v[131:132], v[18:19], -v[58:59]
	v_mul_f64 v[159:160], v[92:93], s[16:17]
	v_fma_f64 v[161:162], v[78:79], s[18:19], -v[135:136]
	v_fma_f64 v[163:164], v[78:79], s[36:37], -v[141:142]
	v_add_f64 v[115:116], v[137:138], v[115:116]
	v_mul_f64 v[137:138], v[92:93], s[48:49]
	v_mul_f64 v[139:140], v[92:93], s[40:41]
	;; [unrolled: 1-line block ×3, first 2 shown]
	v_add_f64 v[119:120], v[143:144], v[119:120]
	v_add_f64 v[121:122], v[145:146], v[121:122]
	v_mul_f64 v[143:144], v[92:93], s[52:53]
	v_fma_f64 v[145:146], v[78:79], s[14:15], -v[149:150]
	v_add_f64 v[127:128], v[153:154], v[127:128]
	v_add_f64 v[111:112], v[147:148], v[111:112]
	;; [unrolled: 1-line block ×3, first 2 shown]
	v_mul_f64 v[147:148], v[92:93], s[34:35]
	v_fma_f64 v[153:154], v[78:79], s[46:47], -v[129:130]
	v_fma_f64 v[151:152], v[78:79], s[4:5], -v[88:89]
	v_add_f64 v[157:158], v[16:17], v[56:57]
	v_add_f64 v[173:174], v[22:23], -v[62:63]
	v_mul_f64 v[171:172], v[68:69], s[22:23]
	v_add_f64 v[185:186], v[20:21], v[60:61]
	v_mul_f64 v[179:180], v[131:132], s[50:51]
	v_fma_f64 v[175:176], v[133:134], s[6:7], -v[159:160]
	v_mul_f64 v[167:168], v[131:132], s[24:25]
	v_mul_f64 v[181:182], v[76:77], s[48:49]
	v_add_f64 v[115:116], v[161:162], v[115:116]
	v_fma_f64 v[161:162], v[133:134], s[46:47], -v[137:138]
	v_fma_f64 v[165:166], v[133:134], s[36:37], -v[139:140]
	v_fma_f64 v[169:170], v[133:134], s[44:45], -v[155:156]
	v_add_f64 v[119:120], v[163:164], v[119:120]
	v_mul_f64 v[187:188], v[131:132], s[20:21]
	v_fma_f64 v[163:164], v[133:134], s[4:5], -v[143:144]
	v_add_f64 v[121:122], v[145:146], v[121:122]
	v_mul_f64 v[145:146], v[131:132], s[16:17]
	v_add_f64 v[205:206], v[52:53], v[28:29]
	v_add_f64 v[125:126], v[24:25], v[125:126]
	v_fma_f64 v[183:184], v[133:134], s[38:39], -v[147:148]
	v_add_f64 v[127:128], v[153:154], v[127:128]
	v_add_f64 v[113:114], v[151:152], v[113:114]
	v_mul_f64 v[151:152], v[131:132], s[42:43]
	v_mul_f64 v[197:198], v[173:174], s[34:35]
	;; [unrolled: 1-line block ×3, first 2 shown]
	v_fma_f64 v[106:107], v[70:71], s[38:39], v[106:107]
	v_fma_f64 v[195:196], v[157:158], s[46:47], -v[179:180]
	v_mul_f64 v[189:190], v[173:174], s[50:51]
	v_fma_f64 v[153:154], v[157:158], s[18:19], -v[167:168]
	v_mul_f64 v[201:202], v[82:83], s[34:35]
	v_add_f64 v[115:116], v[175:176], v[115:116]
	v_add_f64 v[175:176], v[30:31], -v[54:55]
	v_add_f64 v[111:112], v[165:166], v[111:112]
	v_fma_f64 v[108:109], v[70:71], s[4:5], v[108:109]
	v_add_f64 v[119:120], v[161:162], v[119:120]
	v_mul_f64 v[76:77], v[76:77], s[30:31]
	v_fma_f64 v[84:85], v[70:71], s[36:37], v[84:85]
	v_add_f64 v[121:122], v[163:164], v[121:122]
	v_fma_f64 v[163:164], v[157:158], s[6:7], -v[145:146]
	v_fma_f64 v[117:118], v[72:73], s[6:7], v[117:118]
	v_add_f64 v[125:126], v[16:17], v[125:126]
	v_mul_f64 v[203:204], v[173:174], s[30:31]
	v_add_f64 v[127:128], v[183:184], v[127:128]
	v_mul_f64 v[183:184], v[173:174], s[22:23]
	v_fma_f64 v[165:166], v[157:158], s[38:39], -v[151:152]
	v_add_f64 v[113:114], v[169:170], v[113:114]
	v_fma_f64 v[169:170], v[70:71], s[44:45], v[171:172]
	v_fma_f64 v[211:212], v[185:186], s[38:39], -v[197:198]
	v_add_f64 v[106:107], v[106:107], v[0:1]
	v_fma_f64 v[199:200], v[185:186], s[46:47], -v[189:190]
	v_fma_f64 v[86:87], v[70:71], s[14:15], v[86:87]
	v_fma_f64 v[74:75], v[70:71], s[6:7], v[74:75]
	;; [unrolled: 1-line block ×3, first 2 shown]
	v_mul_f64 v[213:214], v[175:176], s[52:53]
	v_add_f64 v[111:112], v[153:154], v[111:112]
	v_fma_f64 v[153:154], v[70:71], s[44:45], -v[171:172]
	v_fma_f64 v[171:172], v[72:73], s[46:47], v[181:182]
	v_fma_f64 v[181:182], v[72:73], s[46:47], -v[181:182]
	v_fma_f64 v[123:124], v[72:73], s[36:37], v[123:124]
	v_add_f64 v[121:122], v[195:196], v[121:122]
	v_add_f64 v[119:120], v[163:164], v[119:120]
	;; [unrolled: 1-line block ×4, first 2 shown]
	v_mul_f64 v[82:83], v[82:83], s[16:17]
	v_fma_f64 v[102:103], v[72:73], s[38:39], v[102:103]
	v_fma_f64 v[215:216], v[185:186], s[44:45], -v[183:184]
	v_add_f64 v[84:85], v[84:85], v[0:1]
	v_add_f64 v[113:114], v[165:166], v[113:114]
	;; [unrolled: 1-line block ×3, first 2 shown]
	v_fma_f64 v[165:166], v[157:158], s[14:15], -v[187:188]
	v_add_f64 v[106:107], v[117:118], v[106:107]
	v_fma_f64 v[104:105], v[72:73], s[44:45], v[104:105]
	v_add_f64 v[86:87], v[86:87], v[0:1]
	v_fma_f64 v[94:95], v[72:73], s[4:5], v[94:95]
	;; [unrolled: 2-line block ×3, first 2 shown]
	v_add_f64 v[111:112], v[199:200], v[111:112]
	v_add_f64 v[153:154], v[153:154], v[0:1]
	v_fma_f64 v[199:200], v[185:186], s[18:19], -v[203:204]
	v_add_f64 v[80:81], v[80:81], v[0:1]
	v_mul_f64 v[177:178], v[131:132], s[22:23]
	v_fma_f64 v[90:91], v[78:79], s[44:45], v[90:91]
	v_add_f64 v[119:120], v[211:212], v[119:120]
	v_fma_f64 v[211:212], v[205:206], s[4:5], -v[213:214]
	v_add_f64 v[125:126], v[28:29], v[125:126]
	v_add_f64 v[108:109], v[123:124], v[108:109]
	v_fma_f64 v[123:124], v[78:79], s[46:47], v[129:130]
	v_add_f64 v[121:122], v[215:216], v[121:122]
	v_fma_f64 v[215:216], v[70:71], s[46:47], -v[68:69]
	v_fma_f64 v[68:69], v[70:71], s[46:47], v[68:69]
	v_add_f64 v[169:170], v[171:172], v[169:170]
	v_add_f64 v[127:128], v[165:166], v[127:128]
	v_fma_f64 v[165:166], v[78:79], s[38:39], v[201:202]
	v_mul_f64 v[171:172], v[92:93], s[24:25]
	v_fma_f64 v[201:202], v[78:79], s[38:39], -v[201:202]
	v_mul_f64 v[92:93], v[92:93], s[28:29]
	v_add_f64 v[84:85], v[102:103], v[84:85]
	v_fma_f64 v[102:103], v[78:79], s[18:19], v[135:136]
	v_add_f64 v[86:87], v[104:105], v[86:87]
	v_add_f64 v[153:154], v[181:182], v[153:154]
	v_fma_f64 v[104:105], v[78:79], s[36:37], v[141:142]
	v_add_f64 v[74:75], v[94:95], v[74:75]
	v_add_f64 v[80:81], v[100:101], v[80:81]
	v_fma_f64 v[88:89], v[78:79], s[4:5], v[88:89]
	v_fma_f64 v[191:192], v[157:158], s[44:45], -v[177:178]
	v_add_f64 v[119:120], v[211:212], v[119:120]
	v_add_f64 v[125:126], v[64:65], v[125:126]
	v_mul_f64 v[161:162], v[173:174], s[40:41]
	v_mul_f64 v[193:194], v[173:174], s[20:21]
	v_fma_f64 v[100:101], v[133:134], s[4:5], v[143:144]
	v_add_f64 v[211:212], v[215:216], v[0:1]
	v_fma_f64 v[215:216], v[72:73], s[18:19], -v[76:77]
	v_fma_f64 v[72:73], v[72:73], s[18:19], v[76:77]
	v_add_f64 v[0:1], v[68:69], v[0:1]
	v_add_f64 v[165:166], v[165:166], v[169:170]
	v_fma_f64 v[169:170], v[133:134], s[18:19], v[171:172]
	v_fma_f64 v[76:77], v[78:79], s[6:7], -v[82:83]
	v_add_f64 v[127:128], v[199:200], v[127:128]
	v_mul_f64 v[199:200], v[131:132], s[12:13]
	v_add_f64 v[84:85], v[102:103], v[84:85]
	v_fma_f64 v[102:103], v[133:134], s[6:7], v[159:160]
	v_add_f64 v[153:154], v[201:202], v[153:154]
	v_add_f64 v[86:87], v[104:105], v[86:87]
	v_fma_f64 v[104:105], v[133:134], s[46:47], v[137:138]
	v_add_f64 v[74:75], v[90:91], v[74:75]
	v_fma_f64 v[90:91], v[133:134], s[36:37], v[139:140]
	;; [unrolled: 2-line block ×4, first 2 shown]
	v_fma_f64 v[78:79], v[78:79], s[6:7], v[82:83]
	v_add_f64 v[115:116], v[191:192], v[115:116]
	v_fma_f64 v[191:192], v[185:186], s[36:37], -v[161:162]
	v_add_f64 v[129:130], v[215:216], v[211:212]
	v_mul_f64 v[209:210], v[175:176], s[10:11]
	v_add_f64 v[0:1], v[72:73], v[0:1]
	v_fma_f64 v[163:164], v[185:186], s[14:15], -v[193:194]
	v_add_f64 v[70:71], v[169:170], v[165:166]
	v_fma_f64 v[169:170], v[133:134], s[18:19], -v[171:172]
	v_mul_f64 v[195:196], v[175:176], s[50:51]
	v_fma_f64 v[141:142], v[157:158], s[4:5], -v[199:200]
	v_fma_f64 v[165:166], v[157:158], s[4:5], v[199:200]
	v_add_f64 v[84:85], v[102:103], v[84:85]
	v_mul_f64 v[139:140], v[173:174], s[12:13]
	v_fma_f64 v[143:144], v[157:158], s[6:7], v[145:146]
	v_add_f64 v[86:87], v[104:105], v[86:87]
	v_fma_f64 v[145:146], v[157:158], s[18:19], v[167:168]
	v_add_f64 v[74:75], v[90:91], v[74:75]
	v_mul_f64 v[207:208], v[175:176], s[28:29]
	v_add_f64 v[80:81], v[88:89], v[80:81]
	v_add_f64 v[117:118], v[52:53], v[117:118]
	;; [unrolled: 1-line block ×4, first 2 shown]
	v_fma_f64 v[108:109], v[133:134], s[38:39], v[147:148]
	v_fma_f64 v[123:124], v[133:134], s[14:15], -v[92:93]
	v_add_f64 v[76:77], v[76:77], v[129:130]
	v_mul_f64 v[129:130], v[131:132], s[26:27]
	v_fma_f64 v[92:93], v[133:134], s[14:15], v[92:93]
	v_add_f64 v[0:1], v[78:79], v[0:1]
	v_fma_f64 v[133:134], v[157:158], s[14:15], v[187:188]
	v_add_f64 v[135:136], v[169:170], v[153:154]
	v_fma_f64 v[88:89], v[157:158], s[38:39], v[151:152]
	v_add_f64 v[68:69], v[66:67], -v[50:51]
	v_add_f64 v[113:114], v[191:192], v[113:114]
	v_fma_f64 v[191:192], v[205:206], s[6:7], -v[209:210]
	v_add_f64 v[115:116], v[163:164], v[115:116]
	v_fma_f64 v[163:164], v[205:206], s[46:47], -v[195:196]
	v_mul_f64 v[219:220], v[175:176], s[24:25]
	v_mul_f64 v[181:182], v[175:176], s[22:23]
	v_add_f64 v[70:71], v[165:166], v[70:71]
	v_mul_f64 v[149:150], v[175:176], s[26:27]
	v_fma_f64 v[151:152], v[185:186], s[44:45], v[183:184]
	v_add_f64 v[117:118], v[60:61], v[117:118]
	v_add_f64 v[94:95], v[100:101], v[94:95]
	v_mul_f64 v[100:101], v[173:174], s[10:11]
	v_add_f64 v[106:107], v[108:109], v[106:107]
	v_fma_f64 v[108:109], v[157:158], s[46:47], v[179:180]
	v_add_f64 v[76:77], v[123:124], v[76:77]
	v_fma_f64 v[102:103], v[157:158], s[36:37], -v[129:130]
	v_fma_f64 v[129:130], v[157:158], s[36:37], v[129:130]
	v_add_f64 v[0:1], v[92:93], v[0:1]
	v_mul_f64 v[153:154], v[175:176], s[34:35]
	v_add_f64 v[135:136], v[141:142], v[135:136]
	v_fma_f64 v[141:142], v[157:158], s[44:45], v[177:178]
	v_add_f64 v[86:87], v[143:144], v[86:87]
	v_fma_f64 v[143:144], v[185:186], s[38:39], v[197:198]
	;; [unrolled: 2-line block ×4, first 2 shown]
	v_fma_f64 v[217:218], v[205:206], s[14:15], -v[207:208]
	v_add_f64 v[82:83], v[48:49], v[64:65]
	v_mul_f64 v[72:73], v[68:69], s[34:35]
	v_mul_f64 v[125:126], v[68:69], s[48:49]
	v_add_f64 v[117:118], v[56:57], v[117:118]
	v_mul_f64 v[131:132], v[68:69], s[12:13]
	v_fma_f64 v[147:148], v[185:186], s[6:7], v[100:101]
	v_fma_f64 v[100:101], v[185:186], s[6:7], -v[100:101]
	v_add_f64 v[94:95], v[108:109], v[94:95]
	v_add_f64 v[106:107], v[133:134], v[106:107]
	v_fma_f64 v[133:134], v[185:186], s[18:19], v[203:204]
	v_add_f64 v[76:77], v[102:103], v[76:77]
	v_fma_f64 v[102:103], v[185:186], s[4:5], -v[139:140]
	v_fma_f64 v[139:140], v[185:186], s[4:5], v[139:140]
	v_add_f64 v[0:1], v[129:130], v[0:1]
	v_add_f64 v[84:85], v[141:142], v[84:85]
	v_fma_f64 v[141:142], v[185:186], s[14:15], v[193:194]
	v_mul_f64 v[137:138], v[68:69], s[24:25]
	v_add_f64 v[113:114], v[191:192], v[113:114]
	v_add_f64 v[115:116], v[163:164], v[115:116]
	v_fma_f64 v[163:164], v[205:206], s[18:19], -v[219:220]
	v_fma_f64 v[191:192], v[205:206], s[44:45], -v[181:182]
	v_mul_f64 v[92:93], v[68:69], s[26:27]
	v_mul_f64 v[108:109], v[68:69], s[10:11]
	;; [unrolled: 1-line block ×4, first 2 shown]
	v_add_f64 v[117:118], v[44:45], v[117:118]
	v_add_f64 v[86:87], v[143:144], v[86:87]
	;; [unrolled: 1-line block ×3, first 2 shown]
	v_fma_f64 v[147:148], v[205:206], s[36:37], v[149:150]
	v_add_f64 v[100:101], v[100:101], v[135:136]
	v_fma_f64 v[135:136], v[205:206], s[36:37], -v[149:150]
	v_add_f64 v[94:95], v[151:152], v[94:95]
	v_fma_f64 v[149:150], v[205:206], s[18:19], v[219:220]
	v_add_f64 v[106:107], v[133:134], v[106:107]
	v_fma_f64 v[133:134], v[205:206], s[44:45], v[181:182]
	v_add_f64 v[76:77], v[102:103], v[76:77]
	v_fma_f64 v[102:103], v[205:206], s[38:39], -v[153:154]
	v_add_f64 v[84:85], v[141:142], v[84:85]
	v_fma_f64 v[141:142], v[205:206], s[46:47], v[195:196]
	v_fma_f64 v[143:144], v[205:206], s[4:5], v[213:214]
	v_add_f64 v[74:75], v[145:146], v[74:75]
	v_fma_f64 v[145:146], v[205:206], s[14:15], v[207:208]
	v_add_f64 v[80:81], v[88:89], v[80:81]
	v_fma_f64 v[88:89], v[205:206], s[6:7], v[209:210]
	v_fma_f64 v[153:154], v[205:206], s[38:39], v[153:154]
	v_add_f64 v[0:1], v[139:140], v[0:1]
	v_add_f64 v[111:112], v[217:218], v[111:112]
	;; [unrolled: 1-line block ×3, first 2 shown]
	v_fma_f64 v[78:79], v[82:83], s[38:39], -v[72:73]
	v_fma_f64 v[123:124], v[82:83], s[46:47], -v[125:126]
	;; [unrolled: 1-line block ×4, first 2 shown]
	v_add_f64 v[121:122], v[163:164], v[121:122]
	v_add_f64 v[127:128], v[191:192], v[127:128]
	v_fma_f64 v[151:152], v[82:83], s[36:37], -v[92:93]
	v_fma_f64 v[139:140], v[82:83], s[6:7], -v[108:109]
	v_add_f64 v[70:71], v[147:148], v[70:71]
	v_fma_f64 v[147:148], v[82:83], s[14:15], v[129:130]
	v_add_f64 v[100:101], v[135:136], v[100:101]
	v_fma_f64 v[129:130], v[82:83], s[14:15], -v[129:130]
	v_add_f64 v[94:95], v[149:150], v[94:95]
	v_fma_f64 v[92:93], v[82:83], s[36:37], v[92:93]
	v_add_f64 v[106:107], v[133:134], v[106:107]
	v_fma_f64 v[108:109], v[82:83], s[6:7], v[108:109]
	v_add_f64 v[76:77], v[102:103], v[76:77]
	v_fma_f64 v[102:103], v[82:83], s[44:45], -v[68:69]
	v_add_f64 v[84:85], v[141:142], v[84:85]
	v_fma_f64 v[131:132], v[82:83], s[4:5], v[131:132]
	v_add_f64 v[86:87], v[143:144], v[86:87]
	v_add_f64 v[117:118], v[36:37], v[117:118]
	v_fma_f64 v[133:134], v[82:83], s[18:19], v[137:138]
	v_add_f64 v[74:75], v[145:146], v[74:75]
	v_fma_f64 v[72:73], v[82:83], s[38:39], v[72:73]
	;; [unrolled: 2-line block ×3, first 2 shown]
	v_fma_f64 v[68:69], v[82:83], s[44:45], v[68:69]
	v_add_f64 v[0:1], v[153:154], v[0:1]
	v_add_f64 v[78:79], v[78:79], v[111:112]
	;; [unrolled: 1-line block ×18, first 2 shown]
	v_mul_u32_u24_e32 v68, 0x88, v96
	v_add3_u32 v68, 0, v68, v110
	ds_write2_b64 v68, v[82:83], v[78:79] offset0:2 offset1:3
	ds_write2_b64 v68, v[90:91], v[104:105] offset0:4 offset1:5
	;; [unrolled: 1-line block ×5, first 2 shown]
	ds_write2_b64 v68, v[102:103], v[76:77] offset1:1
	ds_write2_b64 v68, v[84:85], v[86:87] offset0:12 offset1:13
	ds_write2_b64 v68, v[72:73], v[74:75] offset0:14 offset1:15
	ds_write_b64 v68, v[0:1] offset:128
.LBB0_12:
	s_or_b32 exec_lo, exec_lo, s1
	s_waitcnt vmcnt(16)
	v_lshlrev_b32_e32 v0, 3, v96
	s_waitcnt vmcnt(0) lgkmcnt(0)
	s_barrier
	buffer_gl0_inv
	v_add_nc_u32_e32 v97, 0, v0
	v_add3_u32 v105, 0, v110, v0
	v_add_nc_u32_e32 v104, v97, v110
	v_add_nc_u32_e32 v109, 0x400, v104
	;; [unrolled: 1-line block ×6, first 2 shown]
	ds_read2_b64 v[68:71], v104 offset0:68 offset1:136
	v_add_nc_u32_e32 v108, 0x1800, v104
	ds_read2_b64 v[72:75], v109 offset0:76 offset1:144
	ds_read2_b64 v[76:79], v112 offset0:92 offset1:160
	ds_read2_b64 v[92:95], v111 offset0:108 offset1:176
	ds_read2_b64 v[80:83], v107 offset0:84 offset1:152
	ds_read2_b64 v[84:87], v106 offset0:100 offset1:168
	ds_read2_b64 v[88:91], v108 offset0:116 offset1:184
	ds_read_b64 v[0:1], v105
	ds_read_b64 v[100:101], v104 offset:8160
	s_waitcnt lgkmcnt(0)
	s_barrier
	buffer_gl0_inv
	s_and_saveexec_b32 s33, s0
	s_cbranch_execz .LBB0_14
; %bb.13:
	v_add_f64 v[102:103], v[10:11], v[2:3]
	v_add_f64 v[8:9], v[8:9], -v[32:33]
	s_mov_b32 s30, 0x5d8e7cdc
	s_mov_b32 s42, 0x2a9d6da3
	s_mov_b32 s44, 0x7c9e640b
	s_mov_b32 s36, 0xeb564b22
	s_mov_b32 s18, 0x923c349f
	s_mov_b32 s24, 0x6c9a05f6
	s_mov_b32 s26, 0x4363dd80
	s_mov_b32 s22, 0xacd6c6b4
	s_mov_b32 s31, 0xbfd71e95
	s_mov_b32 s43, 0xbfe58eea
	s_mov_b32 s45, 0xbfeca52d
	s_mov_b32 s37, 0xbfefdd0d
	s_mov_b32 s19, 0xbfeec746
	s_mov_b32 s25, 0xbfe9895b
	s_mov_b32 s27, 0xbfe0d888
	s_mov_b32 s23, 0xbfc7851a
	v_add_f64 v[24:25], v[24:25], -v[44:45]
	v_add_f64 v[12:13], v[12:13], -v[40:41]
	v_add_f64 v[10:11], v[10:11], v[34:35]
	v_add_f64 v[4:5], v[4:5], -v[36:37]
	v_add_f64 v[102:103], v[6:7], v[102:103]
	v_mul_f64 v[40:41], v[8:9], s[30:31]
	v_add_f64 v[6:7], v[6:7], v[38:39]
	v_mul_f64 v[44:45], v[8:9], s[44:45]
	v_mul_f64 v[36:37], v[8:9], s[36:37]
	s_mov_b32 s12, 0x370991
	s_mov_b32 s10, 0x75d4884
	s_mov_b32 s6, 0x2b2883cd
	s_mov_b32 s0, 0x3259b75e
	s_mov_b32 s14, 0xc61f0d01
	s_mov_b32 s16, 0x6ed5f1bb
	s_mov_b32 s20, 0x910ea3b9
	s_mov_b32 s4, 0x7faef3
	s_mov_b32 s13, 0x3fedd6d0
	s_mov_b32 s11, 0x3fe7a5f6
	s_mov_b32 s7, 0x3fdc86fa
	s_mov_b32 s1, 0x3fb79ee6
	s_mov_b32 s15, 0xbfd183b1
	s_mov_b32 s17, 0xbfe348c8
	s_mov_b32 s21, 0xbfeb34fa
	s_mov_b32 s5, 0xbfef7484
	v_add_f64 v[48:49], v[64:65], -v[48:49]
	v_add_f64 v[102:103], v[14:15], v[102:103]
	v_add_f64 v[14:15], v[42:43], v[14:15]
	v_add_f64 v[28:29], v[28:29], -v[52:53]
	v_add_f64 v[20:21], v[20:21], -v[60:61]
	;; [unrolled: 1-line block ×3, first 2 shown]
	v_fma_f64 v[52:53], v[10:11], s[12:13], v[40:41]
	v_fma_f64 v[40:41], v[10:11], s[12:13], -v[40:41]
	v_fma_f64 v[56:57], v[10:11], s[6:7], v[44:45]
	v_fma_f64 v[44:45], v[10:11], s[6:7], -v[44:45]
	s_mov_b32 s49, 0x3fe0d888
	s_mov_b32 s47, 0x3feec746
	;; [unrolled: 1-line block ×6, first 2 shown]
	v_mul_f64 v[113:114], v[4:5], s[22:23]
	v_mul_f64 v[115:116], v[4:5], s[48:49]
	v_mul_f64 v[117:118], v[4:5], s[46:47]
	v_mul_f64 v[119:120], v[4:5], s[28:29]
	s_mov_b32 s35, 0x3fd71e95
	s_mov_b32 s34, s30
	;; [unrolled: 1-line block ×3, first 2 shown]
	v_add_f64 v[102:103], v[26:27], v[102:103]
	v_add_f64 v[26:27], v[46:47], v[26:27]
	s_mov_b32 s39, 0x3fe58eea
	s_mov_b32 s40, s22
	s_mov_b32 s38, s42
	s_mov_b32 s51, 0x3fe9895b
	v_add_f64 v[40:41], v[40:41], v[2:3]
	s_mov_b32 s50, s24
	v_add_f64 v[44:45], v[44:45], v[2:3]
	v_fma_f64 v[127:128], v[6:7], s[4:5], v[113:114]
	v_fma_f64 v[113:114], v[6:7], s[4:5], -v[113:114]
	v_fma_f64 v[129:130], v[6:7], s[20:21], v[115:116]
	v_fma_f64 v[115:116], v[6:7], s[20:21], -v[115:116]
	v_fma_f64 v[131:132], v[6:7], s[14:15], v[117:118]
	v_fma_f64 v[117:118], v[6:7], s[14:15], -v[117:118]
	v_fma_f64 v[133:134], v[6:7], s[6:7], v[119:120]
	v_add_f64 v[102:103], v[18:19], v[102:103]
	v_add_f64 v[18:19], v[18:19], v[58:59]
	v_fma_f64 v[119:120], v[6:7], s[6:7], -v[119:120]
	v_add_f64 v[102:103], v[22:23], v[102:103]
	v_add_f64 v[22:23], v[22:23], v[62:63]
	;; [unrolled: 1-line block ×10, first 2 shown]
	v_fma_f64 v[58:59], v[10:11], s[0:1], v[36:37]
	v_fma_f64 v[36:37], v[10:11], s[0:1], -v[36:37]
	v_add_f64 v[50:51], v[46:47], v[50:51]
	v_mul_f64 v[46:47], v[8:9], s[18:19]
	v_add_f64 v[36:37], v[36:37], v[2:3]
	v_add_f64 v[32:33], v[42:43], v[50:51]
	v_mul_f64 v[42:43], v[8:9], s[42:43]
	v_mul_f64 v[50:51], v[8:9], s[26:27]
	v_fma_f64 v[60:61], v[10:11], s[14:15], v[46:47]
	v_fma_f64 v[46:47], v[10:11], s[14:15], -v[46:47]
	v_add_f64 v[36:37], v[113:114], v[36:37]
	v_mul_f64 v[113:114], v[12:13], s[38:39]
	v_add_f64 v[32:33], v[38:39], v[32:33]
	v_mul_f64 v[38:39], v[8:9], s[24:25]
	v_mul_f64 v[8:9], v[8:9], s[22:23]
	v_fma_f64 v[54:55], v[10:11], s[10:11], v[42:43]
	v_fma_f64 v[42:43], v[10:11], s[10:11], -v[42:43]
	v_fma_f64 v[64:65], v[10:11], s[20:21], v[50:51]
	v_fma_f64 v[50:51], v[10:11], s[20:21], -v[50:51]
	v_add_f64 v[46:47], v[46:47], v[2:3]
	v_fma_f64 v[62:63], v[10:11], s[16:17], v[38:39]
	v_fma_f64 v[38:39], v[10:11], s[16:17], -v[38:39]
	v_fma_f64 v[102:103], v[10:11], s[4:5], v[8:9]
	v_fma_f64 v[8:9], v[10:11], s[4:5], -v[8:9]
	v_add_f64 v[10:11], v[52:53], v[2:3]
	v_add_f64 v[52:53], v[54:55], v[2:3]
	;; [unrolled: 1-line block ×8, first 2 shown]
	v_mul_f64 v[115:116], v[12:13], s[30:31]
	v_add_f64 v[60:61], v[62:63], v[2:3]
	v_add_f64 v[38:39], v[38:39], v[2:3]
	;; [unrolled: 1-line block ×6, first 2 shown]
	v_mul_f64 v[32:33], v[4:5], s[42:43]
	v_mul_f64 v[34:35], v[4:5], s[36:37]
	;; [unrolled: 1-line block ×4, first 2 shown]
	v_add_f64 v[50:51], v[119:120], v[50:51]
	v_add_f64 v[38:39], v[117:118], v[38:39]
	v_mul_f64 v[117:118], v[12:13], s[36:37]
	v_fma_f64 v[121:122], v[6:7], s[10:11], v[32:33]
	v_fma_f64 v[32:33], v[6:7], s[10:11], -v[32:33]
	v_fma_f64 v[123:124], v[6:7], s[0:1], v[34:35]
	v_fma_f64 v[34:35], v[6:7], s[0:1], -v[34:35]
	;; [unrolled: 2-line block ×4, first 2 shown]
	v_add_f64 v[6:7], v[121:122], v[10:11]
	v_add_f64 v[10:11], v[32:33], v[40:41]
	;; [unrolled: 1-line block ×10, first 2 shown]
	v_mul_f64 v[58:59], v[12:13], s[44:45]
	v_mul_f64 v[60:61], v[12:13], s[24:25]
	;; [unrolled: 1-line block ×5, first 2 shown]
	v_fma_f64 v[127:128], v[14:15], s[10:11], v[113:114]
	v_fma_f64 v[113:114], v[14:15], s[10:11], -v[113:114]
	v_fma_f64 v[129:130], v[14:15], s[12:13], v[115:116]
	v_fma_f64 v[131:132], v[14:15], s[0:1], v[117:118]
	v_fma_f64 v[115:116], v[14:15], s[12:13], -v[115:116]
	v_fma_f64 v[117:118], v[14:15], s[0:1], -v[117:118]
	v_add_f64 v[2:3], v[4:5], v[2:3]
	s_mov_b32 s41, 0x3fefdd0d
	s_mov_b32 s40, s36
	v_fma_f64 v[119:120], v[14:15], s[6:7], v[58:59]
	v_fma_f64 v[58:59], v[14:15], s[6:7], -v[58:59]
	v_fma_f64 v[121:122], v[14:15], s[16:17], v[60:61]
	v_fma_f64 v[60:61], v[14:15], s[16:17], -v[60:61]
	;; [unrolled: 2-line block ×5, first 2 shown]
	v_add_f64 v[14:15], v[135:136], v[64:65]
	v_add_f64 v[46:47], v[113:114], v[46:47]
	v_mul_f64 v[64:65], v[24:25], s[44:45]
	v_mul_f64 v[113:114], v[24:25], s[50:51]
	v_add_f64 v[38:39], v[115:116], v[38:39]
	v_add_f64 v[50:51], v[117:118], v[50:51]
	;; [unrolled: 1-line block ×13, first 2 shown]
	v_mul_f64 v[56:57], v[24:25], s[36:37]
	v_mul_f64 v[58:59], v[24:25], s[22:23]
	;; [unrolled: 1-line block ×6, first 2 shown]
	v_fma_f64 v[123:124], v[26:27], s[6:7], v[64:65]
	v_fma_f64 v[64:65], v[26:27], s[6:7], -v[64:65]
	v_fma_f64 v[127:128], v[26:27], s[16:17], v[113:114]
	v_fma_f64 v[113:114], v[26:27], s[16:17], -v[113:114]
	v_add_f64 v[2:3], v[12:13], v[2:3]
	v_add_f64 v[14:15], v[133:134], v[14:15]
	v_fma_f64 v[115:116], v[26:27], s[0:1], v[56:57]
	v_fma_f64 v[56:57], v[26:27], s[0:1], -v[56:57]
	v_fma_f64 v[117:118], v[26:27], s[4:5], v[58:59]
	v_fma_f64 v[58:59], v[26:27], s[4:5], -v[58:59]
	;; [unrolled: 2-line block ×6, first 2 shown]
	v_add_f64 v[50:51], v[113:114], v[50:51]
	v_add_f64 v[4:5], v[115:116], v[4:5]
	v_add_f64 v[6:7], v[56:57], v[6:7]
	v_mul_f64 v[56:57], v[16:17], s[38:39]
	v_add_f64 v[12:13], v[58:59], v[32:33]
	v_add_f64 v[26:27], v[119:120], v[34:35]
	;; [unrolled: 1-line block ×9, first 2 shown]
	v_mul_f64 v[52:53], v[16:17], s[18:19]
	v_mul_f64 v[54:55], v[16:17], s[48:49]
	;; [unrolled: 1-line block ×6, first 2 shown]
	v_add_f64 v[10:11], v[117:118], v[10:11]
	v_add_f64 v[38:39], v[102:103], v[38:39]
	v_mul_f64 v[16:17], v[16:17], s[24:25]
	v_add_f64 v[2:3], v[24:25], v[2:3]
	v_add_f64 v[14:15], v[129:130], v[14:15]
	v_fma_f64 v[115:116], v[18:19], s[10:11], v[56:57]
	v_fma_f64 v[56:57], v[18:19], s[10:11], -v[56:57]
	v_fma_f64 v[102:103], v[18:19], s[14:15], v[52:53]
	v_fma_f64 v[52:53], v[18:19], s[14:15], -v[52:53]
	;; [unrolled: 2-line block ×5, first 2 shown]
	v_fma_f64 v[121:122], v[18:19], s[0:1], v[62:63]
	v_fma_f64 v[123:124], v[18:19], s[12:13], v[64:65]
	v_fma_f64 v[62:63], v[18:19], s[0:1], -v[62:63]
	v_fma_f64 v[64:65], v[18:19], s[12:13], -v[64:65]
	v_fma_f64 v[125:126], v[18:19], s[16:17], v[16:17]
	v_fma_f64 v[16:17], v[18:19], s[16:17], -v[16:17]
	v_add_f64 v[18:19], v[115:116], v[26:27]
	v_add_f64 v[24:25], v[56:57], v[32:33]
	v_mul_f64 v[56:57], v[20:21], s[40:41]
	v_add_f64 v[4:5], v[102:103], v[4:5]
	v_add_f64 v[6:7], v[52:53], v[6:7]
	v_mul_f64 v[52:53], v[20:21], s[30:31]
	v_add_f64 v[12:13], v[54:55], v[12:13]
	v_add_f64 v[26:27], v[117:118], v[34:35]
	;; [unrolled: 1-line block ×6, first 2 shown]
	v_mul_f64 v[42:43], v[20:21], s[24:25]
	v_add_f64 v[44:45], v[123:124], v[46:47]
	v_mul_f64 v[46:47], v[20:21], s[46:47]
	v_mul_f64 v[54:55], v[20:21], s[26:27]
	;; [unrolled: 1-line block ×5, first 2 shown]
	v_add_f64 v[10:11], v[113:114], v[10:11]
	v_add_f64 v[38:39], v[62:63], v[38:39]
	;; [unrolled: 1-line block ×3, first 2 shown]
	v_fma_f64 v[115:116], v[22:23], s[0:1], v[56:57]
	v_fma_f64 v[56:57], v[22:23], s[0:1], -v[56:57]
	v_add_f64 v[2:3], v[16:17], v[2:3]
	v_add_f64 v[14:15], v[125:126], v[14:15]
	v_fma_f64 v[102:103], v[22:23], s[12:13], v[52:53]
	v_fma_f64 v[52:53], v[22:23], s[12:13], -v[52:53]
	v_fma_f64 v[62:63], v[22:23], s[16:17], v[42:43]
	v_fma_f64 v[42:43], v[22:23], s[16:17], -v[42:43]
	;; [unrolled: 2-line block ×4, first 2 shown]
	v_fma_f64 v[117:118], v[22:23], s[10:11], v[58:59]
	v_fma_f64 v[121:122], v[22:23], s[6:7], v[20:21]
	v_fma_f64 v[20:21], v[22:23], s[6:7], -v[20:21]
	v_fma_f64 v[58:59], v[22:23], s[10:11], -v[58:59]
	v_fma_f64 v[119:120], v[22:23], s[4:5], v[60:61]
	v_fma_f64 v[60:61], v[22:23], s[4:5], -v[60:61]
	v_add_f64 v[16:17], v[102:103], v[18:19]
	v_add_f64 v[18:19], v[52:53], v[24:25]
	v_mul_f64 v[52:53], v[28:29], s[30:31]
	v_add_f64 v[4:5], v[62:63], v[4:5]
	v_add_f64 v[6:7], v[42:43], v[6:7]
	v_mul_f64 v[42:43], v[28:29], s[36:37]
	v_add_f64 v[12:13], v[46:47], v[12:13]
	v_add_f64 v[22:23], v[113:114], v[26:27]
	;; [unrolled: 1-line block ×5, first 2 shown]
	v_mul_f64 v[34:35], v[28:29], s[26:27]
	v_add_f64 v[36:37], v[117:118], v[40:41]
	v_mul_f64 v[40:41], v[28:29], s[28:29]
	v_mul_f64 v[46:47], v[28:29], s[50:51]
	v_add_f64 v[2:3], v[20:21], v[2:3]
	v_mul_f64 v[20:21], v[28:29], s[38:39]
	v_add_f64 v[10:11], v[64:65], v[10:11]
	v_add_f64 v[38:39], v[58:59], v[38:39]
	;; [unrolled: 1-line block ×3, first 2 shown]
	v_mul_f64 v[54:55], v[28:29], s[22:23]
	v_mul_f64 v[28:29], v[28:29], s[18:19]
	v_fma_f64 v[64:65], v[30:31], s[12:13], v[52:53]
	v_fma_f64 v[52:53], v[30:31], s[12:13], -v[52:53]
	v_add_f64 v[44:45], v[119:120], v[44:45]
	v_add_f64 v[14:15], v[121:122], v[14:15]
	v_fma_f64 v[60:61], v[30:31], s[0:1], v[42:43]
	v_fma_f64 v[42:43], v[30:31], s[0:1], -v[42:43]
	v_fma_f64 v[56:57], v[30:31], s[20:21], v[34:35]
	v_fma_f64 v[34:35], v[30:31], s[20:21], -v[34:35]
	;; [unrolled: 2-line block ×7, first 2 shown]
	v_mul_f64 v[30:31], v[48:49], s[34:35]
	v_add_f64 v[32:33], v[52:53], v[32:33]
	v_mul_f64 v[52:53], v[48:49], s[18:19]
	v_add_f64 v[16:17], v[60:61], v[16:17]
	v_add_f64 v[18:19], v[42:43], v[18:19]
	v_mul_f64 v[42:43], v[48:49], s[24:25]
	v_add_f64 v[26:27], v[64:65], v[26:27]
	v_add_f64 v[4:5], v[56:57], v[4:5]
	;; [unrolled: 1-line block ×3, first 2 shown]
	v_mul_f64 v[34:35], v[48:49], s[26:27]
	v_add_f64 v[12:13], v[40:41], v[12:13]
	v_mul_f64 v[40:41], v[48:49], s[38:39]
	v_add_f64 v[24:25], v[46:47], v[24:25]
	;; [unrolled: 2-line block ×3, first 2 shown]
	v_mul_f64 v[50:51], v[48:49], s[40:41]
	v_mul_f64 v[48:49], v[48:49], s[22:23]
	v_add_f64 v[36:37], v[102:103], v[36:37]
	v_add_f64 v[10:11], v[58:59], v[10:11]
	;; [unrolled: 1-line block ×4, first 2 shown]
	v_fma_f64 v[28:29], v[66:67], s[12:13], v[30:31]
	v_add_f64 v[22:23], v[62:63], v[22:23]
	v_add_f64 v[44:45], v[113:114], v[44:45]
	v_fma_f64 v[62:63], v[66:67], s[14:15], v[52:53]
	v_fma_f64 v[58:59], v[66:67], s[16:17], v[42:43]
	v_add_f64 v[14:15], v[115:116], v[14:15]
	v_fma_f64 v[30:31], v[66:67], s[12:13], -v[30:31]
	v_fma_f64 v[52:53], v[66:67], s[14:15], -v[52:53]
	;; [unrolled: 1-line block ×3, first 2 shown]
	v_fma_f64 v[54:55], v[66:67], s[20:21], v[34:35]
	v_fma_f64 v[34:35], v[66:67], s[20:21], -v[34:35]
	v_fma_f64 v[56:57], v[66:67], s[10:11], v[40:41]
	v_fma_f64 v[40:41], v[66:67], s[10:11], -v[40:41]
	;; [unrolled: 2-line block ×3, first 2 shown]
	v_fma_f64 v[64:65], v[66:67], s[0:1], v[50:51]
	v_fma_f64 v[102:103], v[66:67], s[4:5], v[48:49]
	v_fma_f64 v[50:51], v[66:67], s[0:1], -v[50:51]
	v_fma_f64 v[48:49], v[66:67], s[4:5], -v[48:49]
	v_add_f64 v[10:11], v[28:29], v[10:11]
	v_add_f64 v[26:27], v[58:59], v[26:27]
	;; [unrolled: 1-line block ×16, first 2 shown]
	v_lshlrev_b32_e32 v34, 7, v96
	v_add3_u32 v34, v97, v34, v110
	ds_write2_b64 v34, v[8:9], v[4:5] offset1:1
	ds_write2_b64 v34, v[10:11], v[16:17] offset0:2 offset1:3
	ds_write2_b64 v34, v[22:23], v[26:27] offset0:4 offset1:5
	;; [unrolled: 1-line block ×7, first 2 shown]
	ds_write_b64 v34, v[6:7] offset:128
.LBB0_14:
	s_or_b32 exec_lo, exec_lo, s33
	v_and_b32_e32 v2, 0xff, v96
	v_add_nc_u16 v3, v96, 0x44
	v_add_nc_u16 v97, v96, 0x88
	v_add_nc_u32_e32 v67, 0xcc, v96
	v_mov_b32_e32 v4, 0xf0f1
	v_mul_lo_u16 v2, 0xf1, v2
	v_and_b32_e32 v5, 0xff, v3
	v_and_b32_e32 v151, 0xff, v97
	s_waitcnt lgkmcnt(0)
	v_mul_u32_u24_sdwa v152, v67, v4 dst_sel:DWORD dst_unused:UNUSED_PAD src0_sel:WORD_0 src1_sel:DWORD
	v_lshrrev_b16 v153, 12, v2
	v_mul_lo_u16 v2, 0xf1, v5
	v_mul_lo_u16 v4, 0xf1, v151
	s_barrier
	v_lshrrev_b32_e32 v154, 20, v152
	v_mul_lo_u16 v5, v153, 17
	v_lshrrev_b16 v155, 12, v2
	v_lshrrev_b16 v156, 12, v4
	v_mov_b32_e32 v2, 3
	v_mul_lo_u16 v4, v154, 17
	v_sub_nc_u16 v157, v96, v5
	v_mul_lo_u16 v5, v155, 17
	v_mul_lo_u16 v6, v156, 17
	buffer_gl0_inv
	v_sub_nc_u16 v158, v67, v4
	v_mul_u32_u24_sdwa v4, v157, v2 dst_sel:DWORD dst_unused:UNUSED_PAD src0_sel:BYTE_0 src1_sel:DWORD
	v_sub_nc_u16 v159, v3, v5
	v_sub_nc_u16 v160, v97, v6
	v_mul_u32_u24_e32 v161, 3, v96
	v_mul_u32_u24_sdwa v3, v158, v2 dst_sel:DWORD dst_unused:UNUSED_PAD src0_sel:WORD_0 src1_sel:DWORD
	v_lshlrev_b32_e32 v11, 4, v4
	v_mul_u32_u24_sdwa v7, v159, v2 dst_sel:DWORD dst_unused:UNUSED_PAD src0_sel:BYTE_0 src1_sel:DWORD
	v_mul_u32_u24_sdwa v15, v160, v2 dst_sel:DWORD dst_unused:UNUSED_PAD src0_sel:BYTE_0 src1_sel:DWORD
	v_lshlrev_b32_e32 v47, 4, v3
	global_load_dwordx4 v[3:6], v11, s[8:9]
	v_lshlrev_b32_e32 v27, 4, v7
	s_clause 0x1
	global_load_dwordx4 v[7:10], v11, s[8:9] offset:16
	global_load_dwordx4 v[11:14], v11, s[8:9] offset:32
	v_lshlrev_b32_e32 v39, 4, v15
	s_clause 0x8
	global_load_dwordx4 v[15:18], v47, s[8:9] offset:16
	global_load_dwordx4 v[19:22], v27, s[8:9]
	global_load_dwordx4 v[23:26], v27, s[8:9] offset:16
	global_load_dwordx4 v[27:30], v27, s[8:9] offset:32
	global_load_dwordx4 v[31:34], v39, s[8:9]
	global_load_dwordx4 v[35:38], v39, s[8:9] offset:16
	global_load_dwordx4 v[39:42], v39, s[8:9] offset:32
	;; [unrolled: 1-line block ×3, first 2 shown]
	global_load_dwordx4 v[47:50], v47, s[8:9]
	ds_read2_b64 v[51:54], v109 offset0:76 offset1:144
	ds_read2_b64 v[55:58], v112 offset0:92 offset1:160
	;; [unrolled: 1-line block ×6, first 2 shown]
	ds_read_b64 v[102:103], v104 offset:8160
	ds_read_b64 v[125:126], v105
	ds_read2_b64 v[121:124], v104 offset0:68 offset1:136
	s_waitcnt vmcnt(0) lgkmcnt(0)
	s_barrier
	buffer_gl0_inv
	v_mul_f64 v[133:134], v[59:60], v[17:18]
	v_mul_f64 v[135:136], v[63:64], v[21:22]
	;; [unrolled: 1-line block ×24, first 2 shown]
	v_fma_f64 v[84:85], v[84:85], v[23:24], -v[137:138]
	v_fma_f64 v[74:75], v[74:75], v[3:4], -v[127:128]
	v_fma_f64 v[3:4], v[53:54], v[3:4], v[5:6]
	v_fma_f64 v[78:79], v[78:79], v[7:8], -v[129:130]
	v_fma_f64 v[5:6], v[57:58], v[7:8], v[9:10]
	;; [unrolled: 2-line block ×3, first 2 shown]
	v_fma_f64 v[92:93], v[92:93], v[15:16], -v[133:134]
	v_fma_f64 v[80:81], v[80:81], v[19:20], -v[135:136]
	;; [unrolled: 1-line block ×3, first 2 shown]
	v_fma_f64 v[9:10], v[59:60], v[15:16], v[17:18]
	v_fma_f64 v[13:14], v[63:64], v[19:20], v[21:22]
	;; [unrolled: 1-line block ×4, first 2 shown]
	v_fma_f64 v[82:83], v[82:83], v[31:32], -v[141:142]
	v_fma_f64 v[86:87], v[86:87], v[35:36], -v[143:144]
	;; [unrolled: 1-line block ×3, first 2 shown]
	v_fma_f64 v[19:20], v[65:66], v[31:32], v[33:34]
	v_fma_f64 v[21:22], v[115:116], v[35:36], v[37:38]
	;; [unrolled: 1-line block ×3, first 2 shown]
	v_fma_f64 v[100:101], v[100:101], v[43:44], -v[147:148]
	v_fma_f64 v[76:77], v[76:77], v[47:48], -v[149:150]
	v_fma_f64 v[11:12], v[102:103], v[43:44], v[45:46]
	v_fma_f64 v[25:26], v[55:56], v[47:48], v[49:50]
	v_add_f64 v[31:32], v[68:69], -v[84:85]
	v_add_f64 v[27:28], v[0:1], -v[78:79]
	;; [unrolled: 1-line block ×6, first 2 shown]
	v_mul_lo_u16 v127, 0x79, v151
	v_add_f64 v[33:34], v[80:81], -v[88:89]
	v_add_f64 v[9:10], v[51:52], -v[9:10]
	v_lshrrev_b32_e32 v128, 22, v152
	v_add_f64 v[15:16], v[121:122], -v[15:16]
	v_add_f64 v[17:18], v[13:14], -v[17:18]
	v_and_b32_e32 v43, 0xffff, v153
	v_add_f64 v[35:36], v[70:71], -v[86:87]
	v_add_f64 v[37:38], v[82:83], -v[90:91]
	v_lshrrev_b16 v59, 13, v127
	v_add_f64 v[21:22], v[123:124], -v[21:22]
	v_add_f64 v[23:24], v[19:20], -v[23:24]
	v_mul_lo_u16 v60, 0x44, v128
	v_add_f64 v[41:42], v[76:77], -v[100:101]
	v_and_b32_e32 v61, 0xffff, v155
	v_add_f64 v[11:12], v[25:26], -v[11:12]
	v_mad_u32_u24 v65, 0x220, v43, 0
	v_fma_f64 v[0:1], v[0:1], 2.0, -v[27:28]
	v_fma_f64 v[45:46], v[68:69], 2.0, -v[31:32]
	;; [unrolled: 1-line block ×3, first 2 shown]
	v_mul_lo_u16 v68, 0x44, v59
	v_sub_nc_u16 v95, v67, v60
	v_fma_f64 v[59:60], v[125:126], 2.0, -v[5:6]
	v_fma_f64 v[3:4], v[3:4], 2.0, -v[7:8]
	;; [unrolled: 1-line block ×4, first 2 shown]
	v_mad_u32_u24 v73, 0x220, v61, 0
	v_fma_f64 v[61:62], v[121:122], 2.0, -v[15:16]
	v_fma_f64 v[13:14], v[13:14], 2.0, -v[17:18]
	;; [unrolled: 1-line block ×4, first 2 shown]
	v_add_f64 v[17:18], v[31:32], -v[17:18]
	v_fma_f64 v[63:64], v[123:124], 2.0, -v[21:22]
	v_fma_f64 v[19:20], v[19:20], 2.0, -v[23:24]
	;; [unrolled: 1-line block ×4, first 2 shown]
	v_and_b32_e32 v66, 0xffff, v156
	v_fma_f64 v[25:26], v[25:26], 2.0, -v[11:12]
	v_lshlrev_b32_sdwa v67, v2, v157 dst_sel:DWORD dst_unused:UNUSED_PAD src0_sel:DWORD src1_sel:BYTE_0
	v_add_f64 v[7:8], v[27:28], -v[7:8]
	v_add_f64 v[11:12], v[39:40], -v[11:12]
	;; [unrolled: 1-line block ×3, first 2 shown]
	v_mad_u32_u24 v74, 0x220, v66, 0
	v_sub_nc_u16 v141, v97, v68
	v_add3_u32 v76, v65, v67, v110
	v_add_f64 v[65:66], v[5:6], v[29:30]
	v_add_f64 v[67:68], v[59:60], -v[3:4]
	v_add_f64 v[47:48], v[45:46], -v[47:48]
	v_add_f64 v[33:34], v[15:16], v[33:34]
	v_add_f64 v[23:24], v[35:36], -v[23:24]
	v_add_f64 v[69:70], v[61:62], -v[13:14]
	v_add_f64 v[37:38], v[21:22], v[37:38]
	v_add_f64 v[53:54], v[49:50], -v[53:54]
	v_fma_f64 v[13:14], v[31:32], 2.0, -v[17:18]
	v_add_f64 v[41:42], v[9:10], v[41:42]
	v_add_f64 v[31:32], v[63:64], -v[19:20]
	v_lshlrev_b32_sdwa v77, v2, v159 dst_sel:DWORD dst_unused:UNUSED_PAD src0_sel:DWORD src1_sel:BYTE_0
	v_add_f64 v[57:58], v[55:56], -v[57:58]
	v_mad_u32_u24 v79, 0x220, v154, 0
	v_add_f64 v[71:72], v[51:52], -v[25:26]
	v_lshlrev_b32_sdwa v75, v2, v158 dst_sel:DWORD dst_unused:UNUSED_PAD src0_sel:DWORD src1_sel:WORD_0
	v_fma_f64 v[3:4], v[27:28], 2.0, -v[7:8]
	v_fma_f64 v[29:30], v[39:40], 2.0, -v[11:12]
	;; [unrolled: 1-line block ×3, first 2 shown]
	ds_write2_b64 v76, v[43:44], v[7:8] offset0:34 offset1:51
	v_lshlrev_b32_sdwa v80, v2, v160 dst_sel:DWORD dst_unused:UNUSED_PAD src0_sel:DWORD src1_sel:BYTE_0
	v_add3_u32 v73, v73, v77, v110
	v_fma_f64 v[39:40], v[5:6], 2.0, -v[65:66]
	v_fma_f64 v[59:60], v[59:60], 2.0, -v[67:68]
	;; [unrolled: 1-line block ×6, first 2 shown]
	v_lshlrev_b32_e32 v78, 4, v161
	v_fma_f64 v[27:28], v[49:50], 2.0, -v[53:54]
	v_fma_f64 v[49:50], v[21:22], 2.0, -v[37:38]
	v_add3_u32 v75, v79, v75, v110
	v_fma_f64 v[61:62], v[63:64], 2.0, -v[31:32]
	v_mul_u32_u24_sdwa v79, v141, v2 dst_sel:DWORD dst_unused:UNUSED_PAD src0_sel:BYTE_0 src1_sel:DWORD
	v_fma_f64 v[35:36], v[55:56], 2.0, -v[57:58]
	v_fma_f64 v[55:56], v[9:10], 2.0, -v[41:42]
	;; [unrolled: 1-line block ×3, first 2 shown]
	v_add3_u32 v74, v74, v80, v110
	ds_write2_b64 v76, v[0:1], v[3:4] offset1:17
	ds_write2_b64 v73, v[47:48], v[17:18] offset0:34 offset1:51
	ds_write2_b64 v73, v[25:26], v[13:14] offset1:17
	ds_write2_b64 v74, v[27:28], v[19:20] offset1:17
	ds_write2_b64 v74, v[53:54], v[23:24] offset0:34 offset1:51
	ds_write2_b64 v75, v[35:36], v[29:30] offset1:17
	ds_write2_b64 v75, v[57:58], v[11:12] offset0:34 offset1:51
	s_waitcnt lgkmcnt(0)
	s_barrier
	buffer_gl0_inv
	ds_read2_b64 v[3:6], v109 offset0:76 offset1:144
	ds_read2_b64 v[7:10], v112 offset0:92 offset1:160
	;; [unrolled: 1-line block ×7, first 2 shown]
	ds_read_b64 v[0:1], v105
	ds_read_b64 v[91:92], v104 offset:8160
	s_waitcnt lgkmcnt(0)
	s_barrier
	buffer_gl0_inv
	ds_write2_b64 v76, v[59:60], v[39:40] offset1:17
	ds_write2_b64 v76, v[67:68], v[65:66] offset0:34 offset1:51
	ds_write2_b64 v73, v[43:44], v[45:46] offset1:17
	ds_write2_b64 v73, v[69:70], v[33:34] offset0:34 offset1:51
	;; [unrolled: 2-line block ×4, first 2 shown]
	v_mul_u32_u24_sdwa v43, v95, v2 dst_sel:DWORD dst_unused:UNUSED_PAD src0_sel:WORD_0 src1_sel:DWORD
	s_waitcnt lgkmcnt(0)
	s_barrier
	buffer_gl0_inv
	s_clause 0x1
	global_load_dwordx4 v[31:34], v78, s[8:9] offset:816
	global_load_dwordx4 v[35:38], v78, s[8:9] offset:832
	v_lshlrev_b32_e32 v51, 4, v79
	global_load_dwordx4 v[39:42], v78, s[8:9] offset:848
	v_lshlrev_b32_e32 v63, 4, v43
	s_clause 0x5
	global_load_dwordx4 v[43:46], v51, s[8:9] offset:816
	global_load_dwordx4 v[47:50], v51, s[8:9] offset:832
	;; [unrolled: 1-line block ×6, first 2 shown]
	ds_read2_b64 v[67:70], v109 offset0:76 offset1:144
	ds_read2_b64 v[71:74], v112 offset0:92 offset1:160
	;; [unrolled: 1-line block ×6, first 2 shown]
	ds_read_b64 v[93:94], v104 offset:8160
	ds_read_b64 v[100:101], v105
	v_mov_b32_e32 v97, 0
	s_waitcnt vmcnt(8)
	v_mul_f64 v[113:114], v[5:6], v[33:34]
	s_waitcnt vmcnt(7)
	v_mul_f64 v[117:118], v[9:10], v[37:38]
	s_waitcnt lgkmcnt(7)
	v_mul_f64 v[102:103], v[69:70], v[33:34]
	s_waitcnt vmcnt(6)
	v_mul_f64 v[139:140], v[13:14], v[41:42]
	s_waitcnt lgkmcnt(6)
	v_mul_f64 v[115:116], v[73:74], v[37:38]
	s_waitcnt lgkmcnt(5)
	;; [unrolled: 2-line block ×5, first 2 shown]
	v_mul_f64 v[125:126], v[87:88], v[41:42]
	s_waitcnt vmcnt(3)
	v_mul_f64 v[131:132], v[89:90], v[53:54]
	v_mul_f64 v[33:34], v[19:20], v[33:34]
	;; [unrolled: 1-line block ×6, first 2 shown]
	s_waitcnt vmcnt(2)
	v_mul_f64 v[133:134], v[71:72], v[57:58]
	v_mul_f64 v[45:46], v[21:22], v[45:46]
	v_mul_f64 v[49:50], v[25:26], v[49:50]
	v_mul_f64 v[53:54], v[29:30], v[53:54]
	s_waitcnt vmcnt(1)
	v_mul_f64 v[135:136], v[75:76], v[61:62]
	s_waitcnt vmcnt(0) lgkmcnt(1)
	v_mul_f64 v[137:138], v[93:94], v[65:66]
	v_mul_f64 v[57:58], v[7:8], v[57:58]
	;; [unrolled: 1-line block ×4, first 2 shown]
	v_fma_f64 v[69:70], v[69:70], v[31:32], v[113:114]
	v_fma_f64 v[73:74], v[73:74], v[35:36], v[117:118]
	;; [unrolled: 1-line block ×3, first 2 shown]
	v_fma_f64 v[102:103], v[5:6], v[31:32], -v[102:103]
	v_fma_f64 v[9:10], v[9:10], v[35:36], -v[115:116]
	;; [unrolled: 1-line block ×6, first 2 shown]
	v_fma_f64 v[30:31], v[79:80], v[31:32], v[33:34]
	v_fma_f64 v[32:33], v[83:84], v[35:36], v[37:38]
	;; [unrolled: 1-line block ×3, first 2 shown]
	v_fma_f64 v[115:116], v[27:28], v[39:40], -v[125:126]
	v_fma_f64 v[21:22], v[21:22], v[43:44], -v[127:128]
	;; [unrolled: 1-line block ×3, first 2 shown]
	ds_read2_b64 v[5:8], v104 offset0:68 offset1:136
	v_fma_f64 v[38:39], v[81:82], v[43:44], v[45:46]
	v_fma_f64 v[40:41], v[85:86], v[47:48], v[49:50]
	;; [unrolled: 1-line block ×3, first 2 shown]
	v_fma_f64 v[25:26], v[25:26], v[47:48], -v[129:130]
	v_fma_f64 v[44:45], v[71:72], v[55:56], v[57:58]
	v_fma_f64 v[46:47], v[75:76], v[59:60], v[61:62]
	;; [unrolled: 1-line block ×3, first 2 shown]
	v_fma_f64 v[11:12], v[11:12], v[59:60], -v[135:136]
	v_fma_f64 v[91:92], v[91:92], v[63:64], -v[137:138]
	s_waitcnt lgkmcnt(1)
	v_add_f64 v[56:57], v[100:101], -v[73:74]
	v_add_f64 v[58:59], v[69:70], -v[77:78]
	;; [unrolled: 1-line block ×5, first 2 shown]
	v_lshlrev_b32_sdwa v27, v2, v95 dst_sel:DWORD dst_unused:UNUSED_PAD src0_sel:DWORD src1_sel:WORD_0
	v_lshlrev_b32_sdwa v2, v2, v141 dst_sel:DWORD dst_unused:UNUSED_PAD src0_sel:DWORD src1_sel:BYTE_0
	v_lshlrev_b64 v[28:29], 4, v[96:97]
	v_add_f64 v[36:37], v[30:31], -v[36:37]
	v_add_f64 v[50:51], v[19:20], -v[115:116]
	s_waitcnt lgkmcnt(0)
	v_add_f64 v[32:33], v[5:6], -v[32:33]
	v_add_f64 v[52:53], v[21:22], -v[119:120]
	v_add3_u32 v79, 0, v2, v110
	v_add_co_u32 v34, s0, s8, v28
	v_add_f64 v[40:41], v[7:8], -v[40:41]
	v_add_f64 v[42:43], v[38:39], -v[42:43]
	;; [unrolled: 1-line block ×7, first 2 shown]
	v_fma_f64 v[71:72], v[100:101], 2.0, -v[56:57]
	v_fma_f64 v[69:70], v[69:70], 2.0, -v[58:59]
	;; [unrolled: 1-line block ×5, first 2 shown]
	v_add_f64 v[75:76], v[56:57], v[13:14]
	v_add_f64 v[58:59], v[9:10], -v[58:59]
	v_add_nc_u32_e32 v88, 0x1000, v79
	v_fma_f64 v[30:31], v[30:31], 2.0, -v[36:37]
	v_fma_f64 v[19:20], v[19:20], 2.0, -v[50:51]
	;; [unrolled: 1-line block ×4, first 2 shown]
	v_add_f64 v[50:51], v[32:33], v[50:51]
	v_add_f64 v[36:37], v[23:24], -v[36:37]
	v_add_co_ci_u32_e64 v35, s0, s9, v29, s0
	v_fma_f64 v[7:8], v[7:8], 2.0, -v[40:41]
	v_fma_f64 v[38:39], v[38:39], 2.0, -v[42:43]
	;; [unrolled: 1-line block ×7, first 2 shown]
	v_add_f64 v[68:69], v[71:72], -v[69:70]
	v_add_f64 v[52:53], v[40:41], v[52:53]
	v_add_f64 v[60:61], v[0:1], -v[60:61]
	v_add_f64 v[42:43], v[25:26], -v[42:43]
	v_add_f64 v[54:55], v[46:47], v[54:55]
	v_add_f64 v[48:49], v[11:12], -v[48:49]
	v_fma_f64 v[56:57], v[56:57], 2.0, -v[75:76]
	v_fma_f64 v[9:10], v[9:10], 2.0, -v[58:59]
	v_add_f64 v[19:20], v[15:16], -v[19:20]
	v_add_f64 v[30:31], v[5:6], -v[30:31]
	v_add_co_u32 v64, s0, 0x800, v34
	v_fma_f64 v[32:33], v[32:33], 2.0, -v[50:51]
	v_fma_f64 v[13:14], v[23:24], 2.0, -v[36:37]
	v_add_co_ci_u32_e64 v65, s0, 0, v35, s0
	v_add_f64 v[38:39], v[7:8], -v[38:39]
	v_add_f64 v[21:22], v[17:18], -v[21:22]
	v_add_co_u32 v73, s0, 0x1000, v34
	v_add_f64 v[44:45], v[66:67], -v[44:45]
	v_add_f64 v[62:63], v[3:4], -v[62:63]
	v_fma_f64 v[70:71], v[71:72], 2.0, -v[68:69]
	v_fma_f64 v[40:41], v[40:41], 2.0, -v[52:53]
	v_fma_f64 v[0:1], v[0:1], 2.0, -v[60:61]
	v_fma_f64 v[23:24], v[25:26], 2.0, -v[42:43]
	v_fma_f64 v[46:47], v[46:47], 2.0, -v[54:55]
	v_fma_f64 v[11:12], v[11:12], 2.0, -v[48:49]
	v_add3_u32 v27, 0, v27, v110
	v_add_co_ci_u32_e64 v74, s0, 0, v35, s0
	v_fma_f64 v[79:80], v[5:6], 2.0, -v[30:31]
	v_fma_f64 v[15:16], v[15:16], 2.0, -v[19:20]
	v_add_co_u32 v77, s0, 0x1800, v34
	v_add_co_ci_u32_e64 v78, s0, 0, v35, s0
	v_add_nc_u32_e32 v87, 0x1800, v27
	v_fma_f64 v[81:82], v[7:8], 2.0, -v[38:39]
	v_fma_f64 v[17:18], v[17:18], 2.0, -v[21:22]
	s_barrier
	v_fma_f64 v[66:67], v[66:67], 2.0, -v[44:45]
	v_fma_f64 v[2:3], v[3:4], 2.0, -v[62:63]
	buffer_gl0_inv
	ds_write2_b64 v104, v[60:61], v[58:59] offset0:136 offset1:204
	ds_write2_b64 v107, v[19:20], v[36:37] offset0:152 offset1:220
	;; [unrolled: 1-line block ×4, first 2 shown]
	ds_write2_b64 v104, v[0:1], v[9:10] offset1:68
	ds_write2_b64 v107, v[15:16], v[13:14] offset0:16 offset1:84
	ds_write2_b64 v88, v[17:18], v[23:24] offset0:32 offset1:100
	;; [unrolled: 1-line block ×3, first 2 shown]
	s_waitcnt lgkmcnt(0)
	s_barrier
	buffer_gl0_inv
	ds_read2_b64 v[0:3], v112 offset0:92 offset1:160
	ds_read2_b64 v[4:7], v104 offset0:68 offset1:136
	;; [unrolled: 1-line block ×7, first 2 shown]
	ds_read_b64 v[83:84], v105
	ds_read_b64 v[85:86], v104 offset:8160
	s_waitcnt lgkmcnt(0)
	s_barrier
	buffer_gl0_inv
	ds_write2_b64 v104, v[70:71], v[56:57] offset1:68
	ds_write2_b64 v104, v[68:69], v[75:76] offset0:136 offset1:204
	ds_write2_b64 v107, v[79:80], v[32:33] offset0:16 offset1:84
	ds_write2_b64 v107, v[30:31], v[50:51] offset0:152 offset1:220
	ds_write2_b64 v88, v[81:82], v[40:41] offset0:32 offset1:100
	ds_write2_b64 v88, v[38:39], v[52:53] offset0:168 offset1:236
	ds_write2_b64 v87, v[66:67], v[46:47] offset0:48 offset1:116
	ds_write2_b64 v87, v[44:45], v[54:55] offset0:184 offset1:252
	s_waitcnt lgkmcnt(0)
	s_barrier
	buffer_gl0_inv
	s_clause 0x3
	global_load_dwordx4 v[30:33], v[64:65], off offset:2032
	global_load_dwordx4 v[36:39], v[73:74], off offset:1072
	global_load_dwordx4 v[40:43], v[77:78], off offset:112
	global_load_dwordx4 v[44:47], v[77:78], off offset:1200
	ds_read2_b64 v[48:51], v112 offset0:92 offset1:160
	ds_read2_b64 v[52:55], v106 offset0:100 offset1:168
	;; [unrolled: 1-line block ×4, first 2 shown]
	ds_read_b64 v[64:65], v104 offset:8160
	s_waitcnt vmcnt(3) lgkmcnt(4)
	v_mul_f64 v[66:67], v[50:51], v[32:33]
	s_waitcnt vmcnt(2) lgkmcnt(3)
	v_mul_f64 v[68:69], v[52:53], v[38:39]
	s_waitcnt vmcnt(1)
	v_mul_f64 v[70:71], v[54:55], v[42:43]
	s_waitcnt vmcnt(0) lgkmcnt(2)
	v_mul_f64 v[72:73], v[56:57], v[46:47]
	v_mul_f64 v[74:75], v[58:59], v[32:33]
	s_waitcnt lgkmcnt(1)
	v_mul_f64 v[76:77], v[60:61], v[38:39]
	v_mul_f64 v[78:79], v[62:63], v[42:43]
	s_waitcnt lgkmcnt(0)
	v_mul_f64 v[80:81], v[64:65], v[46:47]
	v_mul_f64 v[87:88], v[2:3], v[32:33]
	;; [unrolled: 1-line block ×9, first 2 shown]
	v_fma_f64 v[2:3], v[2:3], v[30:31], -v[66:67]
	v_fma_f64 v[66:67], v[8:9], v[36:37], -v[68:69]
	;; [unrolled: 1-line block ×8, first 2 shown]
	v_fma_f64 v[50:51], v[50:51], v[30:31], v[87:88]
	v_fma_f64 v[52:53], v[52:53], v[36:37], v[89:90]
	;; [unrolled: 1-line block ×7, first 2 shown]
	ds_read_b64 v[80:81], v105
	ds_read2_b64 v[8:11], v104 offset0:68 offset1:136
	ds_read2_b64 v[16:19], v109 offset0:76 offset1:144
	;; [unrolled: 1-line block ×3, first 2 shown]
	v_fma_f64 v[38:39], v[64:65], v[44:45], v[46:47]
	s_waitcnt lgkmcnt(0)
	s_barrier
	buffer_gl0_inv
	v_add_f64 v[2:3], v[83:84], -v[2:3]
	v_add_f64 v[40:41], v[4:5], -v[66:67]
	;; [unrolled: 1-line block ×16, first 2 shown]
	v_fma_f64 v[30:31], v[83:84], 2.0, -v[2:3]
	v_fma_f64 v[4:5], v[4:5], 2.0, -v[40:41]
	;; [unrolled: 1-line block ×8, first 2 shown]
	ds_write2_b64 v107, v[2:3], v[40:41] offset0:16 offset1:84
	ds_write2_b64 v107, v[42:43], v[44:45] offset0:152 offset1:220
	;; [unrolled: 1-line block ×4, first 2 shown]
	ds_write2_b64 v104, v[30:31], v[4:5] offset1:68
	ds_write2_b64 v104, v[6:7], v[12:13] offset0:136 offset1:204
	ds_write2_b64 v106, v[14:15], v[20:21] offset0:32 offset1:100
	;; [unrolled: 1-line block ×3, first 2 shown]
	v_fma_f64 v[68:69], v[80:81], 2.0, -v[50:51]
	v_fma_f64 v[70:71], v[8:9], 2.0, -v[52:53]
	;; [unrolled: 1-line block ×7, first 2 shown]
	s_waitcnt lgkmcnt(0)
	s_barrier
	buffer_gl0_inv
	ds_read2_b64 v[12:15], v112 offset0:92 offset1:160
	ds_read2_b64 v[0:3], v104 offset0:68 offset1:136
	;; [unrolled: 1-line block ×7, first 2 shown]
	ds_read_b64 v[30:31], v105
	ds_read_b64 v[32:33], v104 offset:8160
	v_fma_f64 v[48:49], v[48:49], 2.0, -v[38:39]
	s_waitcnt lgkmcnt(0)
	s_barrier
	buffer_gl0_inv
	ds_write2_b64 v104, v[68:69], v[70:71] offset1:68
	ds_write2_b64 v107, v[50:51], v[52:53] offset0:16 offset1:84
	ds_write2_b64 v104, v[72:73], v[74:75] offset0:136 offset1:204
	;; [unrolled: 1-line block ×7, first 2 shown]
	s_waitcnt lgkmcnt(0)
	s_barrier
	buffer_gl0_inv
	s_and_saveexec_b32 s0, vcc_lo
	s_cbranch_execz .LBB0_16
; %bb.15:
	v_add_co_u32 v54, vcc_lo, 0x440, v34
	v_add_co_ci_u32_e32 v55, vcc_lo, 0, v35, vcc_lo
	v_add_co_u32 v56, vcc_lo, 0x880, v34
	v_add_co_ci_u32_e32 v57, vcc_lo, 0, v35, vcc_lo
	;; [unrolled: 2-line block ×5, first 2 shown]
	s_clause 0x3
	global_load_dwordx4 v[36:39], v[40:41], off offset:1712
	global_load_dwordx4 v[40:43], v[40:41], off offset:624
	;; [unrolled: 1-line block ×4, first 2 shown]
	v_add_co_u32 v52, vcc_lo, 0x2000, v52
	v_add_co_ci_u32_e32 v53, vcc_lo, 0, v53, vcc_lo
	v_add_co_u32 v56, vcc_lo, 0x2000, v56
	v_add_co_ci_u32_e32 v57, vcc_lo, 0, v57, vcc_lo
	;; [unrolled: 2-line block ×4, first 2 shown]
	s_clause 0x3
	global_load_dwordx4 v[52:55], v[52:53], off offset:240
	global_load_dwordx4 v[56:59], v[56:57], off offset:240
	global_load_dwordx4 v[60:63], v[60:61], off offset:240
	global_load_dwordx4 v[64:67], v[34:35], off offset:240
	v_add_nc_u32_e32 v72, 0xc00, v104
	v_add_nc_u32_e32 v76, 0x800, v104
	;; [unrolled: 1-line block ×6, first 2 shown]
	ds_read2_b64 v[68:71], v104 offset0:68 offset1:136
	ds_read_b64 v[34:35], v104 offset:8160
	ds_read_b64 v[100:101], v105
	ds_read2_b64 v[72:75], v72 offset0:92 offset1:160
	ds_read2_b64 v[76:79], v76 offset0:84 offset1:152
	;; [unrolled: 1-line block ×6, first 2 shown]
	v_add_nc_u32_e32 v108, 0x198, v96
	v_add_co_u32 v127, vcc_lo, s2, v98
	v_add_co_ci_u32_e32 v128, vcc_lo, s3, v99, vcc_lo
	v_add_nc_u32_e32 v126, 0x1dc, v96
	v_add_co_u32 v98, vcc_lo, v127, v28
	v_mul_hi_u32 v28, 0xf0f0f0f1, v108
	v_add_co_ci_u32_e32 v99, vcc_lo, v128, v29, vcc_lo
	v_mul_hi_u32 v124, 0xf0f0f0f1, v126
	v_add_co_u32 v102, vcc_lo, 0x2000, v98
	v_add_co_ci_u32_e32 v103, vcc_lo, 0, v99, vcc_lo
	v_lshrrev_b32_e32 v28, 9, v28
	v_add_co_u32 v104, vcc_lo, 0x800, v98
	v_lshrrev_b32_e32 v129, 9, v124
	v_add_co_ci_u32_e32 v105, vcc_lo, 0, v99, vcc_lo
	v_mad_u32_u24 v96, 0x220, v28, v108
	v_add_co_u32 v106, vcc_lo, 0x2800, v98
	v_add_co_ci_u32_e32 v107, vcc_lo, 0, v99, vcc_lo
	v_lshlrev_b64 v[124:125], 4, v[96:97]
	v_mad_u32_u24 v96, 0x220, v129, v126
	v_add_co_u32 v122, vcc_lo, 0x1000, v98
	v_add_co_ci_u32_e32 v123, vcc_lo, 0, v99, vcc_lo
	s_waitcnt vmcnt(7) lgkmcnt(7)
	v_mul_f64 v[28:29], v[36:37], v[34:35]
	v_mul_f64 v[34:35], v[38:39], v[34:35]
	s_waitcnt vmcnt(6) lgkmcnt(3)
	v_mul_f64 v[108:109], v[40:41], v[82:83]
	v_mul_f64 v[82:83], v[42:43], v[82:83]
	s_waitcnt vmcnt(5)
	v_mul_f64 v[110:111], v[44:45], v[80:81]
	v_mul_f64 v[80:81], v[46:47], v[80:81]
	s_waitcnt vmcnt(4) lgkmcnt(1)
	v_mul_f64 v[112:113], v[48:49], v[90:91]
	v_mul_f64 v[90:91], v[50:51], v[90:91]
	s_waitcnt vmcnt(3)
	v_mul_f64 v[114:115], v[52:53], v[88:89]
	v_mul_f64 v[88:89], v[54:55], v[88:89]
	s_waitcnt vmcnt(2) lgkmcnt(0)
	v_mul_f64 v[116:117], v[56:57], v[94:95]
	s_waitcnt vmcnt(1)
	v_mul_f64 v[118:119], v[60:61], v[92:93]
	s_waitcnt vmcnt(0)
	v_mul_f64 v[120:121], v[64:65], v[74:75]
	v_mul_f64 v[74:75], v[66:67], v[74:75]
	;; [unrolled: 1-line block ×4, first 2 shown]
	v_fma_f64 v[28:29], v[32:33], v[38:39], v[28:29]
	v_fma_f64 v[32:33], v[32:33], v[36:37], -v[34:35]
	v_fma_f64 v[34:35], v[26:27], v[42:43], v[108:109]
	v_fma_f64 v[26:27], v[26:27], v[40:41], -v[82:83]
	v_fma_f64 v[38:39], v[24:25], v[44:45], -v[80:81]
	v_fma_f64 v[40:41], v[22:23], v[50:51], v[112:113]
	v_fma_f64 v[42:43], v[22:23], v[48:49], -v[90:91]
	v_fma_f64 v[36:37], v[24:25], v[46:47], v[110:111]
	v_fma_f64 v[44:45], v[20:21], v[54:55], v[114:115]
	v_fma_f64 v[46:47], v[20:21], v[52:53], -v[88:89]
	v_fma_f64 v[48:49], v[18:19], v[58:59], v[116:117]
	v_fma_f64 v[50:51], v[16:17], v[62:63], v[118:119]
	;; [unrolled: 1-line block ×3, first 2 shown]
	v_fma_f64 v[54:55], v[14:15], v[64:65], -v[74:75]
	v_fma_f64 v[58:59], v[16:17], v[60:61], -v[92:93]
	;; [unrolled: 1-line block ×3, first 2 shown]
	v_add_f64 v[16:17], v[72:73], -v[28:29]
	v_add_f64 v[14:15], v[12:13], -v[32:33]
	;; [unrolled: 1-line block ×8, first 2 shown]
	v_add_co_u32 v74, vcc_lo, 0x3000, v98
	v_lshlrev_b64 v[60:61], 4, v[96:97]
	v_add_co_ci_u32_e32 v75, vcc_lo, 0, v99, vcc_lo
	v_add_co_u32 v80, vcc_lo, v127, v124
	v_add_f64 v[34:35], v[84:85], -v[44:45]
	v_add_f64 v[32:33], v[4:5], -v[46:47]
	v_add_f64 v[38:39], v[70:71], -v[48:49]
	v_add_f64 v[42:43], v[68:69], -v[50:51]
	v_add_f64 v[46:47], v[100:101], -v[52:53]
	v_add_f64 v[44:45], v[30:31], -v[54:55]
	v_add_f64 v[40:41], v[0:1], -v[58:59]
	v_add_f64 v[36:37], v[2:3], -v[56:57]
	v_add_co_ci_u32_e32 v81, vcc_lo, v128, v125, vcc_lo
	v_add_co_u32 v82, vcc_lo, v127, v60
	v_fma_f64 v[52:53], v[8:9], 2.0, -v[22:23]
	v_fma_f64 v[8:9], v[86:87], 2.0, -v[28:29]
	;; [unrolled: 1-line block ×4, first 2 shown]
	v_add_co_ci_u32_e32 v83, vcc_lo, v128, v61, vcc_lo
	v_fma_f64 v[48:49], v[12:13], 2.0, -v[14:15]
	v_fma_f64 v[12:13], v[78:79], 2.0, -v[20:21]
	;; [unrolled: 1-line block ×12, first 2 shown]
	v_add_co_u32 v0, vcc_lo, 0x2000, v80
	v_add_co_ci_u32_e32 v1, vcc_lo, 0, v81, vcc_lo
	v_add_co_u32 v2, vcc_lo, 0x2000, v82
	v_add_co_ci_u32_e32 v3, vcc_lo, 0, v83, vcc_lo
	global_store_dwordx4 v[74:75], v[26:29], off offset:768
	global_store_dwordx4 v[74:75], v[22:25], off offset:1856
	;; [unrolled: 1-line block ×9, first 2 shown]
	global_store_dwordx4 v[98:99], v[68:71], off
	global_store_dwordx4 v[98:99], v[64:67], off offset:1088
	global_store_dwordx4 v[104:105], v[60:63], off offset:128
	;; [unrolled: 1-line block ×3, first 2 shown]
	global_store_dwordx4 v[80:81], v[10:13], off
	global_store_dwordx4 v[82:83], v[48:51], off
	global_store_dwordx4 v[2:3], v[14:17], off offset:512
.LBB0_16:
	s_endpgm
	.section	.rodata,"a",@progbits
	.p2align	6, 0x0
	.amdhsa_kernel fft_rtc_fwd_len1088_factors_17_4_4_2_2_wgs_204_tpt_68_halfLds_dp_ip_CI_unitstride_sbrr_dirReg
		.amdhsa_group_segment_fixed_size 0
		.amdhsa_private_segment_fixed_size 0
		.amdhsa_kernarg_size 88
		.amdhsa_user_sgpr_count 6
		.amdhsa_user_sgpr_private_segment_buffer 1
		.amdhsa_user_sgpr_dispatch_ptr 0
		.amdhsa_user_sgpr_queue_ptr 0
		.amdhsa_user_sgpr_kernarg_segment_ptr 1
		.amdhsa_user_sgpr_dispatch_id 0
		.amdhsa_user_sgpr_flat_scratch_init 0
		.amdhsa_user_sgpr_private_segment_size 0
		.amdhsa_wavefront_size32 1
		.amdhsa_uses_dynamic_stack 0
		.amdhsa_system_sgpr_private_segment_wavefront_offset 0
		.amdhsa_system_sgpr_workgroup_id_x 1
		.amdhsa_system_sgpr_workgroup_id_y 0
		.amdhsa_system_sgpr_workgroup_id_z 0
		.amdhsa_system_sgpr_workgroup_info 0
		.amdhsa_system_vgpr_workitem_id 0
		.amdhsa_next_free_vgpr 221
		.amdhsa_next_free_sgpr 54
		.amdhsa_reserve_vcc 1
		.amdhsa_reserve_flat_scratch 0
		.amdhsa_float_round_mode_32 0
		.amdhsa_float_round_mode_16_64 0
		.amdhsa_float_denorm_mode_32 3
		.amdhsa_float_denorm_mode_16_64 3
		.amdhsa_dx10_clamp 1
		.amdhsa_ieee_mode 1
		.amdhsa_fp16_overflow 0
		.amdhsa_workgroup_processor_mode 1
		.amdhsa_memory_ordered 1
		.amdhsa_forward_progress 0
		.amdhsa_shared_vgpr_count 0
		.amdhsa_exception_fp_ieee_invalid_op 0
		.amdhsa_exception_fp_denorm_src 0
		.amdhsa_exception_fp_ieee_div_zero 0
		.amdhsa_exception_fp_ieee_overflow 0
		.amdhsa_exception_fp_ieee_underflow 0
		.amdhsa_exception_fp_ieee_inexact 0
		.amdhsa_exception_int_div_zero 0
	.end_amdhsa_kernel
	.text
.Lfunc_end0:
	.size	fft_rtc_fwd_len1088_factors_17_4_4_2_2_wgs_204_tpt_68_halfLds_dp_ip_CI_unitstride_sbrr_dirReg, .Lfunc_end0-fft_rtc_fwd_len1088_factors_17_4_4_2_2_wgs_204_tpt_68_halfLds_dp_ip_CI_unitstride_sbrr_dirReg
                                        ; -- End function
	.section	.AMDGPU.csdata,"",@progbits
; Kernel info:
; codeLenInByte = 14176
; NumSgprs: 56
; NumVgprs: 221
; ScratchSize: 0
; MemoryBound: 1
; FloatMode: 240
; IeeeMode: 1
; LDSByteSize: 0 bytes/workgroup (compile time only)
; SGPRBlocks: 6
; VGPRBlocks: 27
; NumSGPRsForWavesPerEU: 56
; NumVGPRsForWavesPerEU: 221
; Occupancy: 4
; WaveLimiterHint : 1
; COMPUTE_PGM_RSRC2:SCRATCH_EN: 0
; COMPUTE_PGM_RSRC2:USER_SGPR: 6
; COMPUTE_PGM_RSRC2:TRAP_HANDLER: 0
; COMPUTE_PGM_RSRC2:TGID_X_EN: 1
; COMPUTE_PGM_RSRC2:TGID_Y_EN: 0
; COMPUTE_PGM_RSRC2:TGID_Z_EN: 0
; COMPUTE_PGM_RSRC2:TIDIG_COMP_CNT: 0
	.text
	.p2alignl 6, 3214868480
	.fill 48, 4, 3214868480
	.type	__hip_cuid_ba1fbed35b8c40ac,@object ; @__hip_cuid_ba1fbed35b8c40ac
	.section	.bss,"aw",@nobits
	.globl	__hip_cuid_ba1fbed35b8c40ac
__hip_cuid_ba1fbed35b8c40ac:
	.byte	0                               ; 0x0
	.size	__hip_cuid_ba1fbed35b8c40ac, 1

	.ident	"AMD clang version 19.0.0git (https://github.com/RadeonOpenCompute/llvm-project roc-6.4.0 25133 c7fe45cf4b819c5991fe208aaa96edf142730f1d)"
	.section	".note.GNU-stack","",@progbits
	.addrsig
	.addrsig_sym __hip_cuid_ba1fbed35b8c40ac
	.amdgpu_metadata
---
amdhsa.kernels:
  - .args:
      - .actual_access:  read_only
        .address_space:  global
        .offset:         0
        .size:           8
        .value_kind:     global_buffer
      - .offset:         8
        .size:           8
        .value_kind:     by_value
      - .actual_access:  read_only
        .address_space:  global
        .offset:         16
        .size:           8
        .value_kind:     global_buffer
      - .actual_access:  read_only
        .address_space:  global
        .offset:         24
        .size:           8
        .value_kind:     global_buffer
      - .offset:         32
        .size:           8
        .value_kind:     by_value
      - .actual_access:  read_only
        .address_space:  global
        .offset:         40
        .size:           8
        .value_kind:     global_buffer
      - .actual_access:  read_only
        .address_space:  global
        .offset:         48
        .size:           8
        .value_kind:     global_buffer
      - .offset:         56
        .size:           4
        .value_kind:     by_value
      - .actual_access:  read_only
        .address_space:  global
        .offset:         64
        .size:           8
        .value_kind:     global_buffer
      - .actual_access:  read_only
        .address_space:  global
        .offset:         72
        .size:           8
        .value_kind:     global_buffer
      - .address_space:  global
        .offset:         80
        .size:           8
        .value_kind:     global_buffer
    .group_segment_fixed_size: 0
    .kernarg_segment_align: 8
    .kernarg_segment_size: 88
    .language:       OpenCL C
    .language_version:
      - 2
      - 0
    .max_flat_workgroup_size: 204
    .name:           fft_rtc_fwd_len1088_factors_17_4_4_2_2_wgs_204_tpt_68_halfLds_dp_ip_CI_unitstride_sbrr_dirReg
    .private_segment_fixed_size: 0
    .sgpr_count:     56
    .sgpr_spill_count: 0
    .symbol:         fft_rtc_fwd_len1088_factors_17_4_4_2_2_wgs_204_tpt_68_halfLds_dp_ip_CI_unitstride_sbrr_dirReg.kd
    .uniform_work_group_size: 1
    .uses_dynamic_stack: false
    .vgpr_count:     221
    .vgpr_spill_count: 0
    .wavefront_size: 32
    .workgroup_processor_mode: 1
amdhsa.target:   amdgcn-amd-amdhsa--gfx1030
amdhsa.version:
  - 1
  - 2
...

	.end_amdgpu_metadata
